;; amdgpu-corpus repo=ROCm/rocFFT kind=compiled arch=gfx1030 opt=O3
	.text
	.amdgcn_target "amdgcn-amd-amdhsa--gfx1030"
	.amdhsa_code_object_version 6
	.protected	bluestein_single_back_len840_dim1_sp_op_CI_CI ; -- Begin function bluestein_single_back_len840_dim1_sp_op_CI_CI
	.globl	bluestein_single_back_len840_dim1_sp_op_CI_CI
	.p2align	8
	.type	bluestein_single_back_len840_dim1_sp_op_CI_CI,@function
bluestein_single_back_len840_dim1_sp_op_CI_CI: ; @bluestein_single_back_len840_dim1_sp_op_CI_CI
; %bb.0:
	s_load_dwordx4 s[8:11], s[4:5], 0x28
	v_mul_u32_u24_e32 v1, 0x493, v0
	v_mov_b32_e32 v107, 0
	s_mov_b32 s0, exec_lo
	v_lshrrev_b32_e32 v1, 16, v1
	v_add_nc_u32_e32 v106, s6, v1
	s_waitcnt lgkmcnt(0)
	v_cmpx_gt_u64_e64 s[8:9], v[106:107]
	s_cbranch_execz .LBB0_39
; %bb.1:
	s_clause 0x1
	s_load_dwordx4 s[0:3], s[4:5], 0x18
	s_load_dwordx2 s[6:7], s[4:5], 0x0
	v_mul_lo_u16 v1, v1, 56
	v_sub_nc_u16 v37, v0, v1
	v_and_b32_e32 v144, 0xffff, v37
	v_lshlrev_b32_e32 v143, 3, v144
	s_waitcnt lgkmcnt(0)
	s_load_dwordx4 s[12:15], s[0:1], 0x0
	s_clause 0x3
	global_load_dwordx2 v[113:114], v143, s[6:7]
	global_load_dwordx2 v[123:124], v143, s[6:7] offset:448
	global_load_dwordx2 v[125:126], v143, s[6:7] offset:896
	;; [unrolled: 1-line block ×3, first 2 shown]
	v_add_co_u32 v145, s0, s6, v143
	v_add_co_ci_u32_e64 v146, null, s7, 0, s0
	global_load_dwordx2 v[107:108], v143, s[6:7] offset:1792
	v_add_co_u32 v104, vcc_lo, 0x800, v145
	v_add_co_ci_u32_e32 v105, vcc_lo, 0, v146, vcc_lo
	v_add_co_u32 v4, vcc_lo, 0x1000, v145
	v_add_co_ci_u32_e32 v5, vcc_lo, 0, v146, vcc_lo
	s_clause 0x2
	global_load_dwordx2 v[131:132], v[104:105], off offset:1312
	global_load_dwordx2 v[129:130], v[104:105], off offset:1760
	;; [unrolled: 1-line block ×3, first 2 shown]
	v_add_nc_u32_e32 v12, 0x1000, v143
	s_waitcnt lgkmcnt(0)
	v_mad_u64_u32 v[0:1], null, s14, v106, 0
	v_mad_u64_u32 v[2:3], null, s12, v144, 0
	s_mul_i32 s1, s13, 0x1a4
	s_mul_hi_u32 s7, s12, 0x1a4
	s_mul_i32 s0, s12, 0x1a4
	s_mul_hi_u32 s9, s12, 0xfffffe94
	s_add_i32 s1, s7, s1
	s_mul_i32 s8, s13, 0xfffffe94
	v_mad_u64_u32 v[6:7], null, s15, v106, v[1:2]
	v_mad_u64_u32 v[7:8], null, s13, v144, v[3:4]
	s_mul_i32 s6, s12, 0xfffffe94
	s_sub_i32 s7, s9, s12
	s_lshl_b64 s[12:13], s[0:1], 3
	s_add_i32 s7, s7, s8
	v_mov_b32_e32 v1, v6
	s_lshl_b64 s[0:1], s[6:7], 3
	v_mov_b32_e32 v3, v7
	s_load_dwordx2 s[6:7], s[4:5], 0x38
	v_lshlrev_b64 v[0:1], 3, v[0:1]
	v_lshlrev_b64 v[2:3], 3, v[2:3]
	v_add_co_u32 v0, vcc_lo, s10, v0
	v_add_co_ci_u32_e32 v1, vcc_lo, s11, v1, vcc_lo
	v_add_co_u32 v0, vcc_lo, v0, v2
	v_add_co_ci_u32_e32 v1, vcc_lo, v1, v3, vcc_lo
	;; [unrolled: 2-line block ×3, first 2 shown]
	global_load_dwordx2 v[8:9], v[0:1], off
	v_add_co_u32 v6, vcc_lo, v2, s0
	v_add_co_ci_u32_e32 v7, vcc_lo, s1, v3, vcc_lo
	s_clause 0x3
	global_load_dwordx2 v[133:134], v[4:5], off offset:160
	global_load_dwordx2 v[127:128], v[4:5], off offset:608
	;; [unrolled: 1-line block ×4, first 2 shown]
	v_add_co_u32 v0, vcc_lo, v6, s12
	v_add_co_ci_u32_e32 v1, vcc_lo, s13, v7, vcc_lo
	s_clause 0x2
	global_load_dwordx2 v[2:3], v[2:3], off
	global_load_dwordx2 v[6:7], v[6:7], off
	;; [unrolled: 1-line block ×3, first 2 shown]
	v_add_co_u32 v10, vcc_lo, v0, s0
	v_add_co_ci_u32_e32 v11, vcc_lo, s1, v1, vcc_lo
	v_add_co_u32 v0, vcc_lo, v10, s12
	v_add_co_ci_u32_e32 v1, vcc_lo, s13, v11, vcc_lo
	global_load_dwordx2 v[10:11], v[10:11], off
	v_add_co_u32 v15, vcc_lo, v0, s0
	v_add_co_ci_u32_e32 v16, vcc_lo, s1, v1, vcc_lo
	global_load_dwordx2 v[17:18], v[0:1], off
	;; [unrolled: 3-line block ×8, first 2 shown]
	v_add_co_u32 v0, vcc_lo, v27, s12
	v_add_co_ci_u32_e32 v1, vcc_lo, s13, v28, vcc_lo
	global_load_dwordx2 v[119:120], v[104:105], off offset:640
	global_load_dwordx2 v[27:28], v[27:28], off
	global_load_dwordx2 v[121:122], v[4:5], off offset:1952
	global_load_dwordx2 v[31:32], v[0:1], off
	s_load_dwordx4 s[8:11], s[2:3], 0x0
	v_add_nc_u32_e32 v4, 0xc00, v143
	v_cmp_gt_u16_e32 vcc_lo, 28, v37
	s_waitcnt vmcnt(19)
	v_mul_f32_e32 v33, v9, v114
	v_mul_f32_e32 v5, v8, v114
	v_fmac_f32_e32 v33, v8, v113
	v_fma_f32 v34, v9, v113, -v5
	v_add_nc_u32_e32 v5, 0x400, v143
	s_waitcnt vmcnt(14)
	v_mul_f32_e32 v8, v3, v132
	v_mul_f32_e32 v36, v2, v132
	s_waitcnt vmcnt(13)
	v_mul_f32_e32 v35, v7, v124
	v_mul_f32_e32 v38, v6, v124
	v_fmac_f32_e32 v8, v2, v131
	v_fma_f32 v9, v3, v131, -v36
	s_waitcnt vmcnt(12)
	v_mul_f32_e32 v2, v14, v130
	v_mul_f32_e32 v3, v13, v130
	v_fmac_f32_e32 v35, v6, v123
	v_fma_f32 v36, v7, v123, -v38
	ds_write_b64 v143, v[8:9] offset:3360
	ds_write2_b64 v143, v[33:34], v[35:36] offset1:56
	v_fmac_f32_e32 v2, v13, v129
	v_fma_f32 v3, v14, v129, -v3
	s_waitcnt vmcnt(10)
	v_mul_f32_e32 v6, v18, v134
	v_mul_f32_e32 v8, v11, v126
	;; [unrolled: 1-line block ×4, first 2 shown]
	s_waitcnt vmcnt(9)
	v_mul_f32_e32 v13, v16, v116
	v_mul_f32_e32 v14, v15, v116
	v_fmac_f32_e32 v6, v17, v133
	v_fma_f32 v7, v18, v133, -v7
	v_fmac_f32_e32 v8, v10, v125
	v_fma_f32 v9, v11, v125, -v9
	;; [unrolled: 2-line block ×3, first 2 shown]
	ds_write2_b64 v4, v[2:3], v[6:7] offset0:92 offset1:148
	s_waitcnt vmcnt(8)
	v_mul_f32_e32 v2, v22, v128
	v_mul_f32_e32 v3, v21, v128
	s_waitcnt vmcnt(7)
	v_mul_f32_e32 v6, v20, v108
	ds_write2_b64 v143, v[8:9], v[13:14] offset0:112 offset1:168
	v_mul_f32_e32 v7, v19, v108
	v_fmac_f32_e32 v2, v21, v127
	s_waitcnt vmcnt(6)
	v_mul_f32_e32 v8, v26, v118
	v_mul_f32_e32 v9, v25, v118
	v_fma_f32 v3, v22, v127, -v3
	v_fmac_f32_e32 v6, v19, v107
	v_fma_f32 v7, v20, v107, -v7
	s_waitcnt vmcnt(5)
	v_mul_f32_e32 v10, v24, v112
	v_mul_f32_e32 v11, v23, v112
	v_fmac_f32_e32 v8, v25, v117
	v_fma_f32 v9, v26, v117, -v9
	s_waitcnt vmcnt(4)
	v_mul_f32_e32 v13, v30, v110
	v_mul_f32_e32 v14, v29, v110
	v_fmac_f32_e32 v10, v23, v111
	s_waitcnt vmcnt(2)
	v_mul_f32_e32 v15, v28, v120
	v_mul_f32_e32 v16, v27, v120
	s_waitcnt vmcnt(0)
	v_mul_f32_e32 v17, v32, v122
	v_mul_f32_e32 v18, v31, v122
	v_fma_f32 v11, v24, v111, -v11
	v_fmac_f32_e32 v15, v27, v119
	v_fma_f32 v16, v28, v119, -v16
	v_fmac_f32_e32 v13, v29, v109
	;; [unrolled: 2-line block ×3, first 2 shown]
	v_fma_f32 v18, v32, v121, -v18
	ds_write2_b64 v12, v[2:3], v[8:9] offset0:76 offset1:132
	ds_write2_b64 v5, v[6:7], v[10:11] offset0:96 offset1:152
	ds_write_b64 v143, v[15:16] offset:2688
	ds_write2_b64 v12, v[13:14], v[17:18] offset0:188 offset1:244
	s_and_saveexec_b32 s2, vcc_lo
	s_cbranch_execz .LBB0_3
; %bb.2:
	v_add_co_u32 v0, s0, v0, s0
	v_add_co_ci_u32_e64 v1, s0, s1, v1, s0
	v_add_co_u32 v2, s0, 0x1800, v145
	v_add_co_ci_u32_e64 v3, s0, 0, v146, s0
	;; [unrolled: 2-line block ×3, first 2 shown]
	global_load_dwordx2 v[0:1], v[0:1], off
	s_clause 0x1
	global_load_dwordx2 v[8:9], v[104:105], off offset:1088
	global_load_dwordx2 v[2:3], v[2:3], off offset:352
	global_load_dwordx2 v[6:7], v[6:7], off
	s_waitcnt vmcnt(2)
	v_mul_f32_e32 v10, v1, v9
	v_mul_f32_e32 v9, v0, v9
	s_waitcnt vmcnt(0)
	v_mul_f32_e32 v13, v7, v3
	v_mul_f32_e32 v3, v6, v3
	v_fmac_f32_e32 v10, v0, v8
	v_fma_f32 v11, v1, v8, -v9
	v_fmac_f32_e32 v13, v6, v2
	v_fma_f32 v14, v7, v2, -v3
	ds_write_b64 v143, v[10:11] offset:3136
	ds_write_b64 v143, v[13:14] offset:6496
.LBB0_3:
	s_or_b32 exec_lo, exec_lo, s2
	v_add_nc_u32_e32 v0, 0x800, v143
	s_waitcnt lgkmcnt(0)
	s_barrier
	buffer_gl0_inv
	ds_read2_b64 v[16:19], v143 offset1:56
	ds_read2_b64 v[0:3], v0 offset0:80 offset1:164
	ds_read2_b64 v[24:27], v4 offset0:92 offset1:148
	ds_read2_b64 v[8:11], v143 offset0:112 offset1:168
	ds_read2_b64 v[20:23], v12 offset0:76 offset1:132
	ds_read2_b64 v[4:7], v5 offset0:96 offset1:152
	ds_read2_b64 v[12:15], v12 offset0:188 offset1:244
                                        ; implicit-def: $vgpr30
                                        ; implicit-def: $vgpr28
	s_and_saveexec_b32 s0, vcc_lo
	s_cbranch_execz .LBB0_5
; %bb.4:
	ds_read_b64 v[28:29], v143 offset:3136
	ds_read_b64 v[30:31], v143 offset:6496
.LBB0_5:
	s_or_b32 exec_lo, exec_lo, s0
	s_load_dwordx2 s[2:3], s[4:5], 0x8
	v_add_co_u32 v32, s0, v144, 56
	s_waitcnt lgkmcnt(0)
	v_sub_f32_e32 v38, v16, v2
	v_sub_f32_e32 v39, v17, v3
	;; [unrolled: 1-line block ×6, first 2 shown]
	v_add_co_ci_u32_e64 v33, null, 0, 0, s0
	v_add_co_u32 v141, s0, 0x70, v144
	v_add_co_ci_u32_e64 v33, null, 0, 0, s0
	v_add_co_u32 v34, null, 0xa8, v144
	v_add_co_u32 v33, null, 0xe0, v144
	v_lshlrev_b32_e32 v35, 1, v144
	v_add_co_u32 v40, null, 0x188, v144
	v_fma_f32 v36, v16, 2.0, -v38
	v_fma_f32 v37, v17, 2.0, -v39
	;; [unrolled: 1-line block ×5, first 2 shown]
	v_sub_f32_e32 v18, v10, v20
	v_fma_f32 v25, v9, 2.0, -v27
	v_sub_f32_e32 v19, v11, v21
	v_sub_f32_e32 v8, v6, v12
	;; [unrolled: 1-line block ×7, first 2 shown]
	v_lshlrev_b32_e32 v150, 4, v144
	v_sub_f32_e32 v22, v4, v22
	v_sub_f32_e32 v23, v5, v23
	v_fma_f32 v16, v10, 2.0, -v18
	v_fma_f32 v17, v11, 2.0, -v19
	v_fma_f32 v10, v0, 2.0, -v12
	v_fma_f32 v11, v1, 2.0, -v13
	v_fma_f32 v0, v28, 2.0, -v2
	v_fma_f32 v1, v29, 2.0, -v3
	s_barrier
	v_lshlrev_b32_e32 v151, 4, v32
	buffer_gl0_inv
	v_lshlrev_b32_e32 v152, 4, v141
	ds_write_b128 v150, v[36:39]
	v_lshlrev_b32_e32 v39, 1, v32
	v_lshlrev_b32_e32 v38, 1, v141
	;; [unrolled: 1-line block ×6, first 2 shown]
	v_add_nc_u32_e32 v169, 0x230, v35
	v_add_nc_u32_e32 v171, 0x2a0, v35
	v_lshlrev_b32_e32 v154, 4, v40
	v_fma_f32 v20, v4, 2.0, -v22
	v_fma_f32 v21, v5, 2.0, -v23
	;; [unrolled: 1-line block ×4, first 2 shown]
	v_lshlrev_b32_e32 v4, 3, v35
	ds_write_b128 v151, v[41:44]
	ds_write_b128 v152, v[24:27]
	;; [unrolled: 1-line block ×4, first 2 shown]
	ds_write_b128 v4, v[6:9] offset:4480
	ds_write_b128 v4, v[10:13] offset:5376
	s_and_saveexec_b32 s0, vcc_lo
	s_cbranch_execz .LBB0_7
; %bb.6:
	ds_write_b128 v154, v[0:3]
.LBB0_7:
	s_or_b32 exec_lo, exec_lo, s0
	v_add_nc_u32_e32 v8, 0x800, v143
	v_add_nc_u32_e32 v12, 0xc00, v143
	;; [unrolled: 1-line block ×4, first 2 shown]
	s_waitcnt lgkmcnt(0)
	s_barrier
	buffer_gl0_inv
	ds_read2_b64 v[4:7], v143 offset1:56
	ds_read2_b64 v[8:11], v8 offset0:80 offset1:164
	ds_read2_b64 v[28:31], v12 offset0:92 offset1:148
	;; [unrolled: 1-line block ×6, first 2 shown]
	s_and_saveexec_b32 s0, vcc_lo
	s_cbranch_execz .LBB0_9
; %bb.8:
	ds_read_b64 v[0:1], v143 offset:3136
	ds_read_b64 v[2:3], v143 offset:6496
.LBB0_9:
	s_or_b32 exec_lo, exec_lo, s0
	v_and_b32_e32 v148, 1, v144
	v_lshlrev_b32_e32 v147, 1, v40
	v_lshlrev_b32_e32 v41, 3, v148
	v_and_or_b32 v40, 0x7c, v35, v148
	v_and_or_b32 v42, 0x1fc, v38, v148
	;; [unrolled: 1-line block ×4, first 2 shown]
	global_load_dwordx2 v[135:136], v41, s[2:3]
	v_and_or_b32 v41, 0xfc, v39, v148
	v_and_or_b32 v43, 0x1fc, v36, v148
	;; [unrolled: 1-line block ×3, first 2 shown]
	v_lshlrev_b32_e32 v162, 3, v40
	v_lshlrev_b32_e32 v160, 3, v42
	;; [unrolled: 1-line block ×7, first 2 shown]
	s_waitcnt vmcnt(0) lgkmcnt(0)
	s_barrier
	buffer_gl0_inv
	v_mul_f32_e32 v40, v11, v136
	v_mul_f32_e32 v41, v10, v136
	;; [unrolled: 1-line block ×16, first 2 shown]
	v_fma_f32 v10, v10, v135, -v40
	v_fmac_f32_e32 v41, v11, v135
	v_fma_f32 v11, v28, v135, -v42
	v_fma_f32 v28, v30, v135, -v44
	v_fmac_f32_e32 v45, v31, v135
	v_fma_f32 v30, v22, v135, -v48
	v_fma_f32 v31, v24, v135, -v50
	;; [unrolled: 1-line block ×3, first 2 shown]
	v_fmac_f32_e32 v55, v3, v135
	v_fmac_f32_e32 v43, v29, v135
	v_fma_f32 v29, v20, v135, -v46
	v_fmac_f32_e32 v47, v21, v135
	v_fmac_f32_e32 v49, v23, v135
	;; [unrolled: 1-line block ×3, first 2 shown]
	v_fma_f32 v40, v26, v135, -v52
	v_fmac_f32_e32 v53, v27, v135
	v_sub_f32_e32 v2, v4, v10
	v_sub_f32_e32 v3, v5, v41
	;; [unrolled: 1-line block ×16, first 2 shown]
	v_fma_f32 v4, v4, 2.0, -v2
	v_fma_f32 v5, v5, 2.0, -v3
	;; [unrolled: 1-line block ×16, first 2 shown]
	ds_write2_b64 v162, v[4:5], v[2:3] offset1:2
	ds_write2_b64 v161, v[6:7], v[10:11] offset1:2
	;; [unrolled: 1-line block ×7, first 2 shown]
	s_and_saveexec_b32 s0, vcc_lo
	s_cbranch_execz .LBB0_11
; %bb.10:
	v_and_or_b32 v0, 0x37c, v147, v148
	v_lshlrev_b32_e32 v0, 3, v0
	ds_write2_b64 v0, v[28:29], v[30:31] offset1:2
.LBB0_11:
	s_or_b32 exec_lo, exec_lo, s0
	v_add_nc_u32_e32 v4, 0x800, v143
	v_add_nc_u32_e32 v8, 0xc00, v143
	;; [unrolled: 1-line block ×4, first 2 shown]
	s_waitcnt lgkmcnt(0)
	s_barrier
	buffer_gl0_inv
	ds_read2_b64 v[0:3], v143 offset1:56
	ds_read2_b64 v[4:7], v4 offset0:80 offset1:164
	ds_read2_b64 v[24:27], v8 offset0:92 offset1:148
	;; [unrolled: 1-line block ×6, first 2 shown]
	s_and_saveexec_b32 s0, vcc_lo
	s_cbranch_execz .LBB0_13
; %bb.12:
	ds_read_b64 v[28:29], v143 offset:3136
	ds_read_b64 v[30:31], v143 offset:6496
.LBB0_13:
	s_or_b32 exec_lo, exec_lo, s0
	v_and_b32_e32 v149, 3, v144
	v_lshlrev_b32_e32 v40, 3, v149
	v_and_or_b32 v35, 0x78, v35, v149
	v_and_or_b32 v36, 0x1f8, v36, v149
	;; [unrolled: 1-line block ×4, first 2 shown]
	global_load_dwordx2 v[137:138], v40, s[2:3] offset:16
	v_and_or_b32 v39, 0xf8, v39, v149
	v_and_or_b32 v40, 0x2f8, v169, v149
	;; [unrolled: 1-line block ×3, first 2 shown]
	v_lshlrev_b32_e32 v170, 3, v35
	v_lshlrev_b32_e32 v166, 3, v36
	;; [unrolled: 1-line block ×7, first 2 shown]
	s_waitcnt vmcnt(0) lgkmcnt(0)
	s_barrier
	buffer_gl0_inv
	v_mul_f32_e32 v35, v7, v138
	v_mul_f32_e32 v36, v6, v138
	;; [unrolled: 1-line block ×16, first 2 shown]
	v_fma_f32 v6, v6, v137, -v35
	v_fmac_f32_e32 v36, v7, v137
	v_fma_f32 v24, v24, v137, -v37
	v_fmac_f32_e32 v38, v25, v137
	;; [unrolled: 2-line block ×8, first 2 shown]
	v_sub_f32_e32 v6, v0, v6
	v_sub_f32_e32 v7, v1, v36
	v_sub_f32_e32 v16, v2, v24
	v_sub_f32_e32 v17, v3, v38
	v_sub_f32_e32 v18, v12, v25
	v_sub_f32_e32 v19, v13, v40
	v_sub_f32_e32 v20, v14, v26
	v_sub_f32_e32 v21, v15, v42
	v_sub_f32_e32 v22, v8, v27
	v_sub_f32_e32 v23, v9, v44
	v_sub_f32_e32 v24, v10, v35
	v_sub_f32_e32 v25, v11, v46
	v_sub_f32_e32 v26, v4, v37
	v_sub_f32_e32 v27, v5, v48
	v_sub_f32_e32 v66, v28, v30
	v_sub_f32_e32 v67, v29, v50
	v_fma_f32 v0, v0, 2.0, -v6
	v_fma_f32 v1, v1, 2.0, -v7
	;; [unrolled: 1-line block ×14, first 2 shown]
	ds_write2_b64 v170, v[0:1], v[6:7] offset1:4
	ds_write2_b64 v168, v[2:3], v[16:17] offset1:4
	;; [unrolled: 1-line block ×7, first 2 shown]
	s_and_saveexec_b32 s0, vcc_lo
	s_cbranch_execz .LBB0_15
; %bb.14:
	v_and_or_b32 v2, 0x378, v147, v149
	v_fma_f32 v1, v29, 2.0, -v67
	v_fma_f32 v0, v28, 2.0, -v66
	v_lshlrev_b32_e32 v2, 3, v2
	ds_write2_b64 v2, v[0:1], v[66:67] offset1:4
.LBB0_15:
	s_or_b32 exec_lo, exec_lo, s0
	v_and_b32_e32 v31, 7, v144
	s_waitcnt lgkmcnt(0)
	s_barrier
	buffer_gl0_inv
	v_and_b32_e32 v45, 0xff, v32
	v_lshlrev_b32_e32 v0, 4, v31
	v_and_b32_e32 v44, 0xff, v144
	v_add_nc_u32_e32 v6, 0x400, v143
	v_add_nc_u32_e32 v4, 0x1000, v143
	v_add_nc_u32_e32 v5, 0x800, v143
	global_load_dwordx4 v[0:3], v0, s[2:3] offset:48
	v_lshrrev_b32_e32 v39, 3, v144
	v_lshrrev_b32_e32 v40, 3, v32
	;; [unrolled: 1-line block ×5, first 2 shown]
	v_mul_lo_u16 v45, 0xab, v45
	v_mul_lo_u16 v44, 0xab, v44
	ds_read2_b64 v[7:10], v143 offset1:56
	ds_read2_b64 v[11:14], v143 offset0:112 offset1:168
	ds_read_b64 v[37:38], v143 offset:6272
	ds_read2_b64 v[15:18], v6 offset0:96 offset1:152
	ds_read2_b64 v[19:22], v4 offset0:48 offset1:104
	;; [unrolled: 1-line block ×5, first 2 shown]
	v_mul_u32_u24_e32 v39, 24, v39
	v_mul_u32_u24_e32 v40, 24, v40
	;; [unrolled: 1-line block ×5, first 2 shown]
	v_lshrrev_b16 v48, 12, v45
	v_lshrrev_b16 v44, 12, v44
	v_or_b32_e32 v39, v39, v31
	v_or_b32_e32 v40, v40, v31
	;; [unrolled: 1-line block ×5, first 2 shown]
	v_mul_lo_u16 v43, v48, 24
	v_and_b32_e32 v46, 0xff, v141
	v_mul_lo_u16 v45, v44, 24
	v_lshlrev_b32_e32 v179, 3, v39
	v_lshlrev_b32_e32 v175, 3, v42
	v_sub_nc_u16 v32, v32, v43
	v_mul_lo_u16 v46, 0xab, v46
	v_sub_nc_u16 v45, v144, v45
	v_lshlrev_b32_e32 v173, 3, v31
	v_lshlrev_b32_e32 v178, 3, v40
	v_and_b32_e32 v56, 0xff, v32
	v_lshrrev_b16 v52, 12, v46
	v_and_b32_e32 v53, 0xff, v45
	v_lshlrev_b32_e32 v177, 3, v41
	s_waitcnt vmcnt(0) lgkmcnt(0)
	s_barrier
	v_mul_lo_u16 v40, v52, 24
	buffer_gl0_inv
	v_lshlrev_b32_e32 v41, 5, v53
	v_cmp_gt_u16_e64 s0, 8, v144
	v_mul_f32_e32 v31, v18, v1
	v_mul_f32_e32 v32, v17, v1
	;; [unrolled: 1-line block ×20, first 2 shown]
	v_fma_f32 v17, v17, v0, -v31
	v_fmac_f32_e32 v32, v18, v0
	v_fma_f32 v18, v19, v2, -v39
	v_fmac_f32_e32 v42, v20, v2
	;; [unrolled: 2-line block ×10, first 2 shown]
	v_add_f32_e32 v28, v17, v18
	v_add_f32_e32 v31, v32, v42
	;; [unrolled: 1-line block ×7, first 2 shown]
	v_sub_f32_e32 v29, v32, v42
	v_add_f32_e32 v30, v8, v32
	v_sub_f32_e32 v32, v17, v18
	v_add_f32_e32 v55, v23, v24
	v_sub_f32_e32 v58, v57, v59
	v_add_f32_e32 v60, v14, v57
	v_add_f32_e32 v57, v57, v59
	v_add_f32_e32 v65, v25, v26
	v_sub_f32_e32 v68, v61, v63
	v_add_f32_e32 v69, v16, v61
	v_add_f32_e32 v61, v61, v63
	v_fma_f32 v7, -0.5, v28, v7
	v_fma_f32 v8, -0.5, v31, v8
	v_add_f32_e32 v33, v9, v19
	v_sub_f32_e32 v35, v45, v47
	v_add_f32_e32 v36, v10, v45
	v_sub_f32_e32 v38, v19, v20
	v_fma_f32 v9, -0.5, v34, v9
	v_fmac_f32_e32 v10, -0.5, v37
	v_add_f32_e32 v39, v11, v21
	v_sub_f32_e32 v45, v50, v54
	v_add_f32_e32 v46, v12, v50
	v_sub_f32_e32 v50, v21, v22
	v_fma_f32 v11, -0.5, v43, v11
	v_fma_f32 v12, -0.5, v49, v12
	v_add_f32_e32 v51, v13, v23
	v_sub_f32_e32 v62, v23, v24
	v_add_f32_e32 v64, v15, v25
	v_sub_f32_e32 v70, v25, v26
	v_add_f32_e32 v17, v27, v18
	v_add_f32_e32 v18, v30, v42
	v_fma_f32 v13, -0.5, v55, v13
	v_fmac_f32_e32 v14, -0.5, v57
	v_fma_f32 v15, -0.5, v65, v15
	v_fmac_f32_e32 v16, -0.5, v61
	v_fmamk_f32 v27, v29, 0x3f5db3d7, v7
	v_fmamk_f32 v28, v32, 0xbf5db3d7, v8
	v_fmac_f32_e32 v7, 0xbf5db3d7, v29
	v_fmac_f32_e32 v8, 0x3f5db3d7, v32
	v_add_f32_e32 v19, v33, v20
	v_add_f32_e32 v20, v36, v47
	v_fmamk_f32 v29, v35, 0x3f5db3d7, v9
	v_fmamk_f32 v30, v38, 0xbf5db3d7, v10
	v_fmac_f32_e32 v9, 0xbf5db3d7, v35
	v_fmac_f32_e32 v10, 0x3f5db3d7, v38
	v_add_f32_e32 v21, v39, v22
	v_add_f32_e32 v22, v46, v54
	v_fmamk_f32 v31, v45, 0x3f5db3d7, v11
	v_fmamk_f32 v32, v50, 0xbf5db3d7, v12
	v_add_f32_e32 v23, v51, v24
	v_add_f32_e32 v24, v60, v59
	v_add_f32_e32 v25, v64, v26
	v_add_f32_e32 v26, v69, v63
	v_fmac_f32_e32 v11, 0xbf5db3d7, v45
	v_fmac_f32_e32 v12, 0x3f5db3d7, v50
	v_fmamk_f32 v33, v58, 0x3f5db3d7, v13
	v_fmac_f32_e32 v13, 0xbf5db3d7, v58
	v_fmamk_f32 v34, v62, 0xbf5db3d7, v14
	;; [unrolled: 2-line block ×4, first 2 shown]
	v_fmac_f32_e32 v16, 0x3f5db3d7, v70
	ds_write2_b64 v179, v[17:18], v[27:28] offset1:8
	ds_write_b64 v179, v[7:8] offset:128
	ds_write2_b64 v178, v[19:20], v[29:30] offset1:8
	ds_write_b64 v178, v[9:10] offset:128
	;; [unrolled: 2-line block ×5, first 2 shown]
	v_sub_nc_u16 v7, v141, v40
	v_lshlrev_b32_e32 v8, 5, v56
	s_waitcnt lgkmcnt(0)
	s_barrier
	buffer_gl0_inv
	v_and_b32_e32 v15, 0xff, v7
	s_clause 0x2
	global_load_dwordx4 v[36:39], v41, s[2:3] offset:176
	global_load_dwordx4 v[28:31], v8, s[2:3] offset:176
	;; [unrolled: 1-line block ×3, first 2 shown]
	v_mov_b32_e32 v54, 0x78
	v_lshlrev_b32_e32 v7, 5, v15
	s_clause 0x2
	global_load_dwordx4 v[24:27], v8, s[2:3] offset:192
	global_load_dwordx4 v[20:23], v7, s[2:3] offset:176
	;; [unrolled: 1-line block ×3, first 2 shown]
	v_mul_u32_u24_sdwa v55, v44, v54 dst_sel:DWORD dst_unused:UNUSED_PAD src0_sel:WORD_0 src1_sel:DWORD
	ds_read2_b64 v[7:10], v143 offset0:112 offset1:168
	ds_read2_b64 v[11:14], v5 offset0:80 offset1:136
	;; [unrolled: 1-line block ×3, first 2 shown]
	v_mul_u32_u24_sdwa v57, v48, v54 dst_sel:DWORD dst_unused:UNUSED_PAD src0_sel:WORD_0 src1_sel:DWORD
	v_mul_u32_u24_sdwa v58, v52, v54 dst_sel:DWORD dst_unused:UNUSED_PAD src0_sel:WORD_0 src1_sel:DWORD
	ds_read2_b64 v[44:47], v4 offset0:160 offset1:216
	ds_read2_b64 v[48:51], v6 offset0:96 offset1:152
	v_add_lshl_u32 v176, v55, v53, 3
	ds_read2_b64 v[52:55], v4 offset0:48 offset1:104
	v_add_lshl_u32 v174, v57, v56, 3
	v_add_lshl_u32 v172, v58, v15, 3
	ds_read2_b64 v[56:59], v143 offset1:56
	ds_read_b64 v[60:61], v143 offset:6272
	v_add_nc_u32_e32 v62, 0xc00, v143
	v_add_nc_u32_e32 v63, 0x1400, v143
	s_waitcnt vmcnt(0) lgkmcnt(0)
	s_barrier
	buffer_gl0_inv
	v_mul_f32_e32 v15, v10, v37
	v_mul_f32_e32 v64, v9, v37
	;; [unrolled: 1-line block ×24, first 2 shown]
	v_fma_f32 v9, v9, v36, -v15
	v_fmac_f32_e32 v64, v10, v36
	v_fma_f32 v10, v11, v38, -v65
	v_fmac_f32_e32 v68, v12, v38
	v_fma_f32 v15, v42, v32, -v69
	v_fmac_f32_e32 v70, v43, v32
	v_fma_f32 v69, v44, v34, -v71
	v_fmac_f32_e32 v72, v45, v34
	v_fma_f32 v11, v48, v28, -v73
	v_fma_f32 v13, v13, v30, -v75
	v_fmac_f32_e32 v76, v14, v30
	v_fma_f32 v44, v52, v24, -v77
	v_fmac_f32_e32 v78, v53, v24
	v_fmac_f32_e32 v74, v49, v28
	v_fma_f32 v71, v46, v26, -v79
	v_fmac_f32_e32 v80, v47, v26
	v_fma_f32 v12, v50, v20, -v81
	;; [unrolled: 2-line block ×5, first 2 shown]
	v_fmac_f32_e32 v88, v61, v18
	v_add_f32_e32 v14, v56, v9
	v_add_f32_e32 v41, v10, v15
	;; [unrolled: 1-line block ×3, first 2 shown]
	v_sub_f32_e32 v42, v9, v10
	v_sub_f32_e32 v43, v69, v15
	v_add_f32_e32 v45, v9, v69
	v_add_f32_e32 v49, v57, v64
	;; [unrolled: 1-line block ×6, first 2 shown]
	v_sub_f32_e32 v46, v10, v9
	v_sub_f32_e32 v47, v15, v69
	v_add_f32_e32 v87, v11, v71
	v_add_f32_e32 v91, v59, v74
	;; [unrolled: 1-line block ×3, first 2 shown]
	v_sub_f32_e32 v53, v64, v72
	v_sub_f32_e32 v55, v9, v69
	;; [unrolled: 1-line block ×7, first 2 shown]
	v_add_f32_e32 v99, v7, v12
	v_add_f32_e32 v100, v40, v48
	;; [unrolled: 1-line block ×7, first 2 shown]
	v_fma_f32 v9, -0.5, v41, v56
	v_fma_f32 v10, -0.5, v50, v57
	v_sub_f32_e32 v54, v68, v70
	v_sub_f32_e32 v83, v11, v13
	;; [unrolled: 1-line block ×7, first 2 shown]
	v_add_f32_e32 v190, v42, v43
	v_add_f32_e32 v43, v49, v68
	v_fma_f32 v11, -0.5, v45, v56
	v_fma_f32 v12, -0.5, v65, v57
	v_sub_f32_e32 v79, v74, v80
	v_sub_f32_e32 v94, v13, v44
	v_add_f32_e32 v45, v75, v13
	v_fma_f32 v13, -0.5, v77, v58
	v_fma_f32 v14, -0.5, v92, v59
	v_sub_f32_e32 v81, v76, v78
	v_add_f32_e32 v191, v46, v47
	v_fma_f32 v58, -0.5, v87, v58
	v_add_f32_e32 v47, v91, v76
	v_fmac_f32_e32 v59, -0.5, v97
	v_sub_f32_e32 v101, v82, v88
	v_sub_f32_e32 v102, v84, v86
	;; [unrolled: 1-line block ×3, first 2 shown]
	v_add_f32_e32 v68, v51, v52
	v_add_f32_e32 v73, v64, v73
	;; [unrolled: 1-line block ×3, first 2 shown]
	v_fma_f32 v64, -0.5, v100, v7
	v_fma_f32 v7, -0.5, v140, v7
	v_add_f32_e32 v51, v181, v84
	v_fma_f32 v65, -0.5, v182, v8
	v_fmac_f32_e32 v8, -0.5, v187
	v_fmamk_f32 v40, v53, 0x3f737871, v9
	v_fmamk_f32 v41, v55, 0xbf737871, v10
	;; [unrolled: 1-line block ×3, first 2 shown]
	v_fmac_f32_e32 v11, 0x3f737871, v54
	v_add_f32_e32 v56, v43, v70
	v_fmamk_f32 v43, v61, 0x3f737871, v12
	v_fmac_f32_e32 v12, 0xbf737871, v61
	v_fmac_f32_e32 v9, 0xbf737871, v53
	;; [unrolled: 1-line block ×3, first 2 shown]
	v_sub_f32_e32 v85, v71, v44
	v_sub_f32_e32 v90, v44, v71
	;; [unrolled: 1-line block ×4, first 2 shown]
	v_add_f32_e32 v57, v45, v44
	v_fmamk_f32 v44, v79, 0x3f737871, v13
	v_fmamk_f32 v45, v93, 0xbf737871, v14
	v_sub_f32_e32 v74, v76, v74
	v_sub_f32_e32 v98, v78, v80
	v_fmamk_f32 v46, v81, 0xbf737871, v58
	v_fmac_f32_e32 v58, 0x3f737871, v81
	v_add_f32_e32 v70, v47, v78
	v_fmamk_f32 v47, v94, 0x3f737871, v59
	v_fmac_f32_e32 v59, 0xbf737871, v94
	v_sub_f32_e32 v139, v60, v48
	v_sub_f32_e32 v180, v48, v60
	v_sub_f32_e32 v185, v82, v84
	v_sub_f32_e32 v186, v88, v86
	v_sub_f32_e32 v82, v84, v82
	v_sub_f32_e32 v188, v86, v88
	v_add_f32_e32 v15, v189, v15
	v_fmac_f32_e32 v13, 0xbf737871, v79
	v_fmac_f32_e32 v14, 0x3f737871, v93
	v_add_f32_e32 v78, v49, v48
	v_fmamk_f32 v48, v101, 0x3f737871, v64
	v_fmac_f32_e32 v64, 0xbf737871, v101
	v_fmamk_f32 v50, v102, 0xbf737871, v7
	v_fmac_f32_e32 v7, 0x3f737871, v102
	v_add_f32_e32 v86, v51, v86
	v_fmamk_f32 v49, v183, 0xbf737871, v65
	v_fmac_f32_e32 v65, 0x3f737871, v183
	v_fmamk_f32 v51, v184, 0x3f737871, v8
	v_fmac_f32_e32 v8, 0xbf737871, v184
	v_fmac_f32_e32 v40, 0x3f167918, v54
	;; [unrolled: 1-line block ×9, first 2 shown]
	v_add_f32_e32 v75, v83, v85
	v_add_f32_e32 v76, v95, v96
	v_fmac_f32_e32 v44, 0x3f167918, v81
	v_fmac_f32_e32 v45, 0xbf167918, v94
	v_add_f32_e32 v77, v89, v90
	v_add_f32_e32 v74, v74, v98
	v_fmac_f32_e32 v46, 0x3f167918, v79
	v_fmac_f32_e32 v58, 0xbf167918, v79
	;; [unrolled: 1-line block ×4, first 2 shown]
	v_add_f32_e32 v83, v103, v139
	v_add_f32_e32 v85, v142, v180
	;; [unrolled: 1-line block ×6, first 2 shown]
	v_fmac_f32_e32 v13, 0xbf167918, v81
	v_fmac_f32_e32 v14, 0x3f167918, v94
	;; [unrolled: 1-line block ×18, first 2 shown]
	v_add_f32_e32 v54, v57, v71
	v_add_f32_e32 v55, v70, v80
	v_fmac_f32_e32 v44, 0x3e9e377a, v75
	v_fmac_f32_e32 v45, 0x3e9e377a, v76
	v_fmac_f32_e32 v46, 0x3e9e377a, v77
	v_fmac_f32_e32 v58, 0x3e9e377a, v77
	v_fmac_f32_e32 v47, 0x3e9e377a, v74
	v_fmac_f32_e32 v59, 0x3e9e377a, v74
	v_add_f32_e32 v56, v78, v60
	v_add_f32_e32 v57, v86, v88
	v_fmac_f32_e32 v13, 0x3e9e377a, v75
	v_fmac_f32_e32 v14, 0x3e9e377a, v76
	;; [unrolled: 1-line block ×10, first 2 shown]
	ds_write2_b64 v176, v[52:53], v[40:41] offset1:24
	ds_write2_b64 v176, v[42:43], v[11:12] offset0:48 offset1:72
	ds_write_b64 v176, v[9:10] offset:768
	ds_write2_b64 v174, v[54:55], v[44:45] offset1:24
	ds_write2_b64 v174, v[46:47], v[58:59] offset0:48 offset1:72
	ds_write_b64 v174, v[13:14] offset:768
	;; [unrolled: 3-line block ×3, first 2 shown]
	s_waitcnt lgkmcnt(0)
	s_barrier
	buffer_gl0_inv
	ds_read2_b64 v[68:71], v143 offset1:56
	ds_read2_b64 v[100:103], v143 offset0:120 offset1:176
	ds_read2_b64 v[96:99], v6 offset0:112 offset1:168
	ds_read2_b64 v[92:95], v5 offset0:104 offset1:160
	ds_read2_b64 v[88:91], v62 offset0:96 offset1:152
	ds_read2_b64 v[84:87], v4 offset0:88 offset1:144
	ds_read2_b64 v[80:83], v63 offset0:80 offset1:136
                                        ; implicit-def: $vgpr74
                                        ; implicit-def: $vgpr78
                                        ; implicit-def: $vgpr139
	s_and_saveexec_b32 s1, s0
	s_cbranch_execz .LBB0_17
; %bb.16:
	ds_read2_b64 v[64:67], v143 offset0:112 offset1:232
	ds_read2_b64 v[72:75], v5 offset0:96 offset1:216
	ds_read2_b64 v[76:79], v4 offset0:80 offset1:200
	ds_read_b64 v[139:140], v143 offset:6656
.LBB0_17:
	s_or_b32 exec_lo, exec_lo, s1
	v_mad_u64_u32 v[4:5], null, v144, 48, s[2:3]
	s_clause 0x2
	global_load_dwordx4 v[60:63], v[4:5], off offset:944
	global_load_dwordx4 v[52:55], v[4:5], off offset:960
	;; [unrolled: 1-line block ×3, first 2 shown]
	v_add_co_u32 v6, s1, 0x800, v4
	v_add_co_ci_u32_e64 v7, s1, 0, v5, s1
	v_add_co_u32 v4, s1, 0xe30, v4
	v_add_co_ci_u32_e64 v5, s1, 0, v5, s1
	s_clause 0x2
	global_load_dwordx4 v[56:59], v[6:7], off offset:1584
	global_load_dwordx4 v[48:51], v[4:5], off offset:16
	;; [unrolled: 1-line block ×3, first 2 shown]
	v_add_nc_u32_e32 v4, -8, v144
	v_cndmask_b32_e64 v4, v4, v141, s0
	v_mul_i32_i24_e32 v5, 48, v4
	v_mul_hi_i32_i24_e32 v4, 48, v4
	v_add_co_u32 v12, s1, s2, v5
	v_add_co_ci_u32_e64 v13, s1, s3, v4, s1
	s_clause 0x2
	global_load_dwordx4 v[8:11], v[12:13], off offset:944
	global_load_dwordx4 v[4:7], v[12:13], off offset:960
	global_load_dwordx4 v[12:15], v[12:13], off offset:976
	s_waitcnt vmcnt(8) lgkmcnt(5)
	v_mul_f32_e32 v141, v101, v61
	v_mul_f32_e32 v142, v100, v61
	s_waitcnt lgkmcnt(4)
	v_mul_f32_e32 v180, v97, v63
	v_mul_f32_e32 v181, v96, v63
	s_waitcnt vmcnt(7) lgkmcnt(3)
	v_mul_f32_e32 v182, v93, v53
	v_mul_f32_e32 v183, v92, v53
	s_waitcnt lgkmcnt(2)
	v_mul_f32_e32 v184, v89, v55
	v_mul_f32_e32 v185, v88, v55
	;; [unrolled: 6-line block ×3, first 2 shown]
	v_fma_f32 v100, v100, v60, -v141
	v_fmac_f32_e32 v142, v101, v60
	v_fma_f32 v96, v96, v62, -v180
	v_fmac_f32_e32 v181, v97, v62
	;; [unrolled: 2-line block ×6, first 2 shown]
	s_waitcnt vmcnt(5)
	v_mul_f32_e32 v81, v103, v57
	v_mul_f32_e32 v85, v102, v57
	v_mul_f32_e32 v89, v99, v59
	v_mul_f32_e32 v93, v98, v59
	s_waitcnt vmcnt(4)
	v_mul_f32_e32 v97, v95, v49
	v_mul_f32_e32 v101, v94, v49
	v_mul_f32_e32 v141, v91, v51
	v_mul_f32_e32 v180, v90, v51
	;; [unrolled: 5-line block ×3, first 2 shown]
	v_add_f32_e32 v190, v100, v80
	v_add_f32_e32 v191, v142, v189
	v_sub_f32_e32 v80, v100, v80
	v_sub_f32_e32 v100, v142, v189
	v_add_f32_e32 v142, v96, v84
	v_add_f32_e32 v189, v181, v187
	v_sub_f32_e32 v84, v96, v84
	v_sub_f32_e32 v96, v181, v187
	;; [unrolled: 4-line block ×3, first 2 shown]
	v_fma_f32 v81, v102, v56, -v81
	v_fmac_f32_e32 v85, v103, v56
	v_fma_f32 v89, v98, v58, -v89
	v_fmac_f32_e32 v93, v99, v58
	;; [unrolled: 2-line block ×6, first 2 shown]
	s_waitcnt vmcnt(2)
	v_mul_f32_e32 v83, v67, v9
	v_mul_f32_e32 v87, v66, v9
	;; [unrolled: 1-line block ×4, first 2 shown]
	s_waitcnt vmcnt(1)
	v_mul_f32_e32 v97, v75, v5
	v_mul_f32_e32 v98, v74, v5
	s_waitcnt vmcnt(0)
	v_mul_f32_e32 v103, v79, v13
	v_mul_f32_e32 v141, v78, v13
	;; [unrolled: 1-line block ×6, first 2 shown]
	v_add_f32_e32 v185, v142, v190
	v_add_f32_e32 v186, v189, v191
	v_sub_f32_e32 v192, v142, v190
	v_sub_f32_e32 v190, v190, v181
	v_add_f32_e32 v194, v88, v84
	v_add_f32_e32 v195, v92, v96
	v_sub_f32_e32 v196, v88, v84
	v_add_f32_e32 v198, v81, v82
	v_add_f32_e32 v199, v85, v188
	v_sub_f32_e32 v81, v81, v82
	v_sub_f32_e32 v82, v85, v188
	v_add_f32_e32 v85, v89, v86
	v_add_f32_e32 v188, v93, v184
	v_sub_f32_e32 v86, v89, v86
	;; [unrolled: 4-line block ×3, first 2 shown]
	v_sub_f32_e32 v94, v180, v101
	v_fma_f32 v66, v66, v8, -v83
	v_fmac_f32_e32 v87, v67, v8
	v_fma_f32 v67, v72, v10, -v91
	v_fmac_f32_e32 v95, v73, v10
	;; [unrolled: 2-line block ×5, first 2 shown]
	v_sub_f32_e32 v193, v189, v191
	v_sub_f32_e32 v191, v191, v187
	;; [unrolled: 1-line block ×8, first 2 shown]
	v_fma_f32 v73, v76, v6, -v99
	v_fmac_f32_e32 v102, v77, v6
	v_add_f32_e32 v76, v181, v185
	v_add_f32_e32 v77, v187, v186
	;; [unrolled: 1-line block ×4, first 2 shown]
	v_mul_f32_e32 v80, 0x3f4a47b2, v190
	v_mul_f32_e32 v99, 0xbf08b237, v196
	v_add_f32_e32 v139, v85, v198
	v_add_f32_e32 v140, v188, v199
	v_sub_f32_e32 v181, v188, v199
	v_sub_f32_e32 v186, v184, v188
	v_add_f32_e32 v187, v90, v86
	v_add_f32_e32 v188, v94, v89
	v_sub_f32_e32 v190, v90, v86
	v_add_f32_e32 v194, v66, v75
	v_add_f32_e32 v195, v87, v183
	;; [unrolled: 3-line block ×3, first 2 shown]
	v_sub_f32_e32 v92, v100, v92
	v_mul_f32_e32 v83, 0x3f4a47b2, v191
	v_mul_f32_e32 v91, 0x3d64c772, v142
	;; [unrolled: 1-line block ×6, first 2 shown]
	v_sub_f32_e32 v180, v85, v198
	v_sub_f32_e32 v182, v198, v93
	;; [unrolled: 1-line block ×12, first 2 shown]
	v_add_f32_e32 v141, v72, v73
	v_add_f32_e32 v197, v98, v102
	v_sub_f32_e32 v72, v73, v72
	v_sub_f32_e32 v73, v102, v98
	v_add_f32_e32 v66, v68, v76
	v_add_f32_e32 v67, v69, v77
	v_fmamk_f32 v98, v142, 0x3d64c772, v80
	v_fmamk_f32 v142, v88, 0x3eae86e6, v99
	v_fma_f32 v84, 0x3f5ff5aa, v84, -v99
	v_add_f32_e32 v93, v93, v139
	v_add_f32_e32 v99, v184, v140
	;; [unrolled: 1-line block ×4, first 2 shown]
	v_mul_f32_e32 v140, 0xbf08b237, v190
	v_add_f32_e32 v187, v183, v194
	v_add_f32_e32 v188, v196, v195
	v_fmamk_f32 v102, v189, 0x3d64c772, v83
	v_fma_f32 v91, 0x3f3bfb3b, v192, -v91
	v_fma_f32 v97, 0x3f3bfb3b, v193, -v97
	;; [unrolled: 1-line block ×4, first 2 shown]
	v_fmamk_f32 v189, v92, 0x3eae86e6, v100
	v_fma_f32 v96, 0x3f5ff5aa, v96, -v100
	v_fma_f32 v88, 0xbeae86e6, v88, -v101
	;; [unrolled: 1-line block ×3, first 2 shown]
	v_mul_f32_e32 v100, 0x3f4a47b2, v182
	v_mul_f32_e32 v101, 0x3f4a47b2, v185
	;; [unrolled: 1-line block ×7, first 2 shown]
	v_sub_f32_e32 v190, v183, v194
	v_sub_f32_e32 v191, v196, v195
	;; [unrolled: 1-line block ×6, first 2 shown]
	v_add_f32_e32 v195, v72, v74
	v_add_f32_e32 v196, v73, v95
	v_sub_f32_e32 v198, v72, v74
	v_sub_f32_e32 v199, v73, v95
	;; [unrolled: 1-line block ×4, first 2 shown]
	v_fmamk_f32 v76, v76, 0xbf955555, v66
	v_fmamk_f32 v77, v77, 0xbf955555, v67
	v_add_f32_e32 v68, v70, v93
	v_add_f32_e32 v69, v71, v99
	v_fmamk_f32 v200, v90, 0x3eae86e6, v140
	v_fma_f32 v86, 0x3f5ff5aa, v86, -v140
	v_add_f32_e32 v140, v141, v187
	v_add_f32_e32 v141, v197, v188
	v_sub_f32_e32 v72, v75, v72
	v_sub_f32_e32 v73, v87, v73
	v_fmac_f32_e32 v142, 0x3ee1c552, v78
	v_fmac_f32_e32 v189, 0x3ee1c552, v79
	v_fmac_f32_e32 v84, 0x3ee1c552, v78
	v_fmac_f32_e32 v96, 0x3ee1c552, v79
	v_fmac_f32_e32 v88, 0x3ee1c552, v78
	v_fmac_f32_e32 v92, 0x3ee1c552, v79
	v_fmamk_f32 v85, v85, 0x3d64c772, v100
	v_fmamk_f32 v186, v186, 0x3d64c772, v101
	v_fma_f32 v103, 0x3f3bfb3b, v180, -v103
	v_fma_f32 v139, 0x3f3bfb3b, v181, -v139
	;; [unrolled: 1-line block ×4, first 2 shown]
	v_fmamk_f32 v201, v94, 0x3eae86e6, v182
	v_fma_f32 v89, 0x3f5ff5aa, v89, -v182
	v_fma_f32 v90, 0xbeae86e6, v90, -v184
	;; [unrolled: 1-line block ×3, first 2 shown]
	v_add_f32_e32 v182, v195, v75
	v_mul_f32_e32 v70, 0x3f4a47b2, v192
	v_mul_f32_e32 v71, 0x3f4a47b2, v193
	;; [unrolled: 1-line block ×8, first 2 shown]
	v_add_f32_e32 v98, v98, v76
	v_add_f32_e32 v102, v102, v77
	v_add_f32_e32 v91, v91, v76
	v_add_f32_e32 v97, v97, v77
	v_add_f32_e32 v76, v80, v76
	v_add_f32_e32 v77, v83, v77
	v_fmamk_f32 v80, v93, 0xbf955555, v68
	v_fmamk_f32 v83, v99, 0xbf955555, v69
	v_add_f32_e32 v100, v64, v140
	v_add_f32_e32 v101, v65, v141
	;; [unrolled: 1-line block ×3, first 2 shown]
	v_fmac_f32_e32 v200, 0x3ee1c552, v81
	v_fmac_f32_e32 v201, 0x3ee1c552, v82
	;; [unrolled: 1-line block ×6, first 2 shown]
	v_fmamk_f32 v82, v183, 0x3d64c772, v70
	v_fmamk_f32 v93, v194, 0x3d64c772, v71
	v_fma_f32 v99, 0x3f3bfb3b, v190, -v75
	v_fma_f32 v183, 0x3f3bfb3b, v191, -v78
	;; [unrolled: 1-line block ×4, first 2 shown]
	v_fmamk_f32 v191, v72, 0x3eae86e6, v79
	v_fmamk_f32 v192, v73, 0x3eae86e6, v184
	v_fma_f32 v193, 0x3f5ff5aa, v74, -v79
	v_fma_f32 v95, 0x3f5ff5aa, v95, -v184
	;; [unrolled: 1-line block ×4, first 2 shown]
	v_add_f32_e32 v64, v189, v98
	v_sub_f32_e32 v65, v102, v142
	v_add_f32_e32 v70, v92, v76
	v_sub_f32_e32 v71, v77, v88
	v_sub_f32_e32 v72, v91, v96
	v_add_f32_e32 v73, v84, v97
	v_add_f32_e32 v74, v96, v91
	v_sub_f32_e32 v75, v97, v84
	v_sub_f32_e32 v76, v76, v92
	v_add_f32_e32 v77, v88, v77
	v_add_f32_e32 v81, v85, v80
	v_add_f32_e32 v84, v186, v83
	v_add_f32_e32 v88, v139, v83
	v_add_f32_e32 v83, v181, v83
	v_fmamk_f32 v91, v140, 0xbf955555, v100
	v_fmamk_f32 v92, v141, 0xbf955555, v101
	v_add_f32_e32 v79, v142, v102
	v_sub_f32_e32 v78, v98, v189
	v_add_f32_e32 v85, v103, v80
	v_add_f32_e32 v80, v180, v80
	v_fmac_f32_e32 v191, 0x3ee1c552, v182
	v_fmac_f32_e32 v192, 0x3ee1c552, v87
	v_fmac_f32_e32 v193, 0x3ee1c552, v182
	v_fmac_f32_e32 v95, 0x3ee1c552, v87
	v_fmac_f32_e32 v184, 0x3ee1c552, v182
	v_fmac_f32_e32 v185, 0x3ee1c552, v87
	ds_write_b64 v143, v[64:65] offset:960
	ds_write_b64 v143, v[70:71] offset:1920
	;; [unrolled: 1-line block ×6, first 2 shown]
	ds_write2_b64 v143, v[66:67], v[68:69] offset1:56
	v_add_f32_e32 v64, v201, v81
	v_sub_f32_e32 v65, v84, v200
	v_sub_f32_e32 v73, v83, v90
	v_add_f32_e32 v79, v90, v83
	v_add_f32_e32 v82, v82, v91
	;; [unrolled: 1-line block ×8, first 2 shown]
	ds_write_b64 v143, v[64:65] offset:1408
	v_add_f32_e32 v102, v192, v82
	v_sub_f32_e32 v103, v83, v191
	v_add_f32_e32 v64, v185, v70
	v_sub_f32_e32 v65, v71, v184
	v_sub_f32_e32 v66, v68, v95
	v_add_f32_e32 v67, v193, v69
	v_add_f32_e32 v68, v95, v68
	v_sub_f32_e32 v69, v69, v193
	v_sub_f32_e32 v70, v70, v185
	v_add_f32_e32 v71, v184, v71
	v_sub_f32_e32 v141, v82, v192
	v_add_f32_e32 v142, v191, v83
	;; [unrolled: 2-line block ×3, first 2 shown]
	v_add_f32_e32 v76, v89, v85
	v_sub_f32_e32 v77, v88, v86
	v_sub_f32_e32 v78, v80, v94
	;; [unrolled: 1-line block ×3, first 2 shown]
	v_add_f32_e32 v81, v200, v84
	ds_write_b64 v143, v[72:73] offset:2368
	ds_write_b64 v143, v[74:75] offset:3328
	;; [unrolled: 1-line block ×5, first 2 shown]
	s_and_saveexec_b32 s1, s0
	s_cbranch_execz .LBB0_19
; %bb.18:
	v_add_nc_u32_e32 v72, 0x800, v143
	v_add_nc_u32_e32 v73, 0x1000, v143
	ds_write2_b64 v143, v[100:101], v[102:103] offset0:112 offset1:232
	ds_write2_b64 v72, v[64:65], v[66:67] offset0:96 offset1:216
	ds_write2_b64 v73, v[68:69], v[70:71] offset0:80 offset1:200
	ds_write_b64 v143, v[141:142] offset:6656
.LBB0_19:
	s_or_b32 exec_lo, exec_lo, s1
	v_add_co_u32 v139, s1, 0x1800, v145
	v_add_co_ci_u32_e64 v140, s1, 0, v146, s1
	s_waitcnt lgkmcnt(0)
	s_barrier
	buffer_gl0_inv
	global_load_dwordx2 v[74:75], v[139:140], off offset:576
	v_add_co_u32 v72, s1, 0x1a40, v145
	v_add_co_ci_u32_e64 v73, s1, 0, v146, s1
	v_add_co_u32 v76, s1, 0x2000, v145
	v_add_co_ci_u32_e64 v77, s1, 0, v146, s1
	global_load_dwordx2 v[97:98], v[72:73], off offset:448
	v_add_co_u32 v78, s1, 0x2800, v145
	v_add_co_ci_u32_e64 v79, s1, 0, v146, s1
	v_add_co_u32 v80, s1, 0x3000, v145
	v_add_co_ci_u32_e64 v81, s1, 0, v146, s1
	s_clause 0xb
	global_load_dwordx2 v[188:189], v[76:77], off offset:1888
	global_load_dwordx2 v[190:191], v[78:79], off offset:288
	;; [unrolled: 1-line block ×12, first 2 shown]
	ds_read2_b64 v[76:79], v143 offset1:56
	v_add_nc_u32_e32 v84, 0x1000, v143
	s_waitcnt vmcnt(13) lgkmcnt(0)
	v_mul_f32_e32 v80, v77, v75
	v_mul_f32_e32 v81, v76, v75
	v_fma_f32 v80, v76, v74, -v80
	v_fmac_f32_e32 v81, v77, v74
	v_add_nc_u32_e32 v74, 0x800, v143
	v_add_nc_u32_e32 v77, 0xc00, v143
	;; [unrolled: 1-line block ×3, first 2 shown]
	s_waitcnt vmcnt(12)
	v_mul_f32_e32 v75, v79, v98
	ds_write_b64 v143, v[80:81]
	ds_read2_b64 v[80:83], v74 offset0:80 offset1:164
	ds_read2_b64 v[85:88], v77 offset0:92 offset1:148
	;; [unrolled: 1-line block ×6, first 2 shown]
	v_mul_f32_e32 v99, v78, v98
	v_fma_f32 v98, v78, v97, -v75
	v_fmac_f32_e32 v99, v79, v97
	s_waitcnt vmcnt(11) lgkmcnt(5)
	v_mul_f32_e32 v75, v83, v189
	v_mul_f32_e32 v79, v82, v189
	s_waitcnt vmcnt(10) lgkmcnt(4)
	v_mul_f32_e32 v210, v86, v191
	v_mul_f32_e32 v189, v85, v191
	;; [unrolled: 3-line block ×3, first 2 shown]
	s_waitcnt vmcnt(8)
	v_mul_f32_e32 v212, v88, v195
	v_mul_f32_e32 v193, v87, v195
	s_waitcnt vmcnt(6)
	v_mul_f32_e32 v213, v92, v199
	v_mul_f32_e32 v195, v91, v199
	s_waitcnt lgkmcnt(2)
	v_mul_f32_e32 v214, v94, v197
	v_mul_f32_e32 v199, v93, v197
	s_waitcnt vmcnt(5) lgkmcnt(1)
	v_mul_f32_e32 v215, v181, v201
	v_mul_f32_e32 v197, v180, v201
	s_waitcnt vmcnt(4)
	v_mul_f32_e32 v216, v96, v146
	v_mul_f32_e32 v201, v95, v146
	s_waitcnt vmcnt(2) lgkmcnt(0)
	v_mul_f32_e32 v218, v185, v205
	v_mul_f32_e32 v146, v184, v205
	;; [unrolled: 1-line block ×4, first 2 shown]
	s_waitcnt vmcnt(1)
	v_mul_f32_e32 v219, v81, v207
	v_mul_f32_e32 v203, v80, v207
	s_waitcnt vmcnt(0)
	v_mul_f32_e32 v207, v187, v209
	v_mul_f32_e32 v205, v186, v209
	v_fma_f32 v78, v82, v188, -v75
	v_fmac_f32_e32 v79, v83, v188
	v_fma_f32 v188, v85, v190, -v210
	v_fmac_f32_e32 v189, v86, v190
	;; [unrolled: 2-line block ×12, first 2 shown]
	ds_write2_b64 v74, v[78:79], v[188:189] offset0:164 offset1:220
	ds_write2_b64 v143, v[98:99], v[190:191] offset0:56 offset1:112
	;; [unrolled: 1-line block ×6, first 2 shown]
	ds_write_b64 v143, v[204:205] offset:6048
	s_and_saveexec_b32 s2, vcc_lo
	s_cbranch_execz .LBB0_21
; %bb.20:
	v_add_co_u32 v78, s1, 0x800, v72
	v_add_co_ci_u32_e64 v79, s1, 0, v73, s1
	v_add_co_u32 v72, s1, 0x1800, v72
	v_add_co_ci_u32_e64 v73, s1, 0, v73, s1
	s_clause 0x1
	global_load_dwordx2 v[78:79], v[78:79], off offset:1088
	global_load_dwordx2 v[72:73], v[72:73], off offset:352
	ds_read_b64 v[80:81], v143 offset:3136
	ds_read_b64 v[82:83], v143 offset:6496
	s_waitcnt vmcnt(1) lgkmcnt(1)
	v_mul_f32_e32 v75, v81, v79
	v_mul_f32_e32 v86, v80, v79
	s_waitcnt vmcnt(0) lgkmcnt(0)
	v_mul_f32_e32 v87, v83, v73
	v_mul_f32_e32 v79, v82, v73
	v_fma_f32 v85, v80, v78, -v75
	v_fmac_f32_e32 v86, v81, v78
	v_fma_f32 v78, v82, v72, -v87
	v_fmac_f32_e32 v79, v83, v72
	ds_write_b64 v143, v[85:86] offset:3136
	ds_write_b64 v143, v[78:79] offset:6496
.LBB0_21:
	s_or_b32 exec_lo, exec_lo, s2
	s_waitcnt lgkmcnt(0)
	s_barrier
	buffer_gl0_inv
	ds_read2_b64 v[88:91], v143 offset1:56
	ds_read2_b64 v[72:75], v74 offset0:80 offset1:164
	ds_read2_b64 v[96:99], v77 offset0:92 offset1:148
	;; [unrolled: 1-line block ×6, first 2 shown]
	v_lshlrev_b32_e32 v146, 3, v169
	v_lshlrev_b32_e32 v145, 3, v171
	s_and_saveexec_b32 s1, vcc_lo
	s_cbranch_execz .LBB0_23
; %bb.22:
	ds_read_b64 v[100:101], v143 offset:3136
	ds_read_b64 v[102:103], v143 offset:6496
.LBB0_23:
	s_or_b32 exec_lo, exec_lo, s1
	s_waitcnt lgkmcnt(4)
	v_sub_f32_e32 v186, v90, v96
	v_sub_f32_e32 v187, v91, v97
	s_waitcnt lgkmcnt(3)
	v_sub_f32_e32 v98, v80, v98
	v_sub_f32_e32 v99, v81, v99
	;; [unrolled: 1-line block ×4, first 2 shown]
	v_fma_f32 v184, v90, 2.0, -v186
	v_fma_f32 v185, v91, 2.0, -v187
	;; [unrolled: 1-line block ×3, first 2 shown]
	s_waitcnt lgkmcnt(2)
	v_sub_f32_e32 v90, v82, v92
	v_fma_f32 v97, v81, 2.0, -v99
	v_sub_f32_e32 v91, v83, v93
	s_waitcnt lgkmcnt(0)
	v_sub_f32_e32 v80, v78, v84
	v_sub_f32_e32 v81, v79, v85
	;; [unrolled: 1-line block ×8, first 2 shown]
	v_fma_f32 v180, v88, 2.0, -v182
	v_fma_f32 v181, v89, 2.0, -v183
	;; [unrolled: 1-line block ×12, first 2 shown]
	s_barrier
	buffer_gl0_inv
	ds_write_b128 v150, v[180:183]
	ds_write_b128 v151, v[184:187]
	;; [unrolled: 1-line block ×7, first 2 shown]
	s_and_saveexec_b32 s1, vcc_lo
	s_cbranch_execz .LBB0_25
; %bb.24:
	ds_write_b128 v154, v[72:75]
.LBB0_25:
	s_or_b32 exec_lo, exec_lo, s1
	v_add_nc_u32_e32 v76, 0x800, v143
	v_add_nc_u32_e32 v80, 0xc00, v143
	;; [unrolled: 1-line block ×4, first 2 shown]
	s_waitcnt lgkmcnt(0)
	s_barrier
	buffer_gl0_inv
	ds_read2_b64 v[84:87], v143 offset1:56
	ds_read2_b64 v[76:79], v76 offset0:80 offset1:164
	ds_read2_b64 v[100:103], v80 offset0:92 offset1:148
	;; [unrolled: 1-line block ×6, first 2 shown]
	s_and_saveexec_b32 s1, vcc_lo
	s_cbranch_execz .LBB0_27
; %bb.26:
	ds_read_b64 v[72:73], v143 offset:3136
	ds_read_b64 v[74:75], v143 offset:6496
.LBB0_27:
	s_or_b32 exec_lo, exec_lo, s1
	s_waitcnt lgkmcnt(5)
	v_mul_f32_e32 v145, v136, v79
	v_mul_f32_e32 v146, v136, v78
	s_waitcnt lgkmcnt(4)
	v_mul_f32_e32 v150, v136, v101
	v_mul_f32_e32 v151, v136, v100
	s_waitcnt lgkmcnt(0)
	v_mul_f32_e32 v152, v136, v75
	v_fmac_f32_e32 v145, v135, v78
	v_fma_f32 v79, v135, v79, -v146
	v_mul_f32_e32 v146, v136, v103
	v_mul_f32_e32 v78, v136, v102
	v_fmac_f32_e32 v150, v135, v100
	v_mul_f32_e32 v100, v136, v97
	v_fma_f32 v101, v135, v101, -v151
	v_fmac_f32_e32 v146, v135, v102
	v_fma_f32 v102, v135, v103, -v78
	v_mul_f32_e32 v78, v136, v96
	v_fmac_f32_e32 v100, v135, v96
	v_mul_f32_e32 v96, v136, v99
	v_mul_f32_e32 v103, v136, v98
	;; [unrolled: 1-line block ×3, first 2 shown]
	v_fma_f32 v97, v135, v97, -v78
	v_mul_f32_e32 v78, v136, v92
	v_fmac_f32_e32 v96, v135, v98
	v_fma_f32 v98, v135, v99, -v103
	v_mul_f32_e32 v103, v136, v95
	v_fmac_f32_e32 v151, v135, v92
	v_fma_f32 v99, v135, v93, -v78
	v_mul_f32_e32 v93, v136, v74
	v_mul_f32_e32 v92, v136, v94
	v_fmac_f32_e32 v103, v135, v94
	v_sub_f32_e32 v78, v84, v145
	v_fmac_f32_e32 v152, v135, v74
	v_fma_f32 v145, v135, v75, -v93
	v_sub_f32_e32 v79, v85, v79
	v_fma_f32 v136, v135, v95, -v92
	v_sub_f32_e32 v135, v76, v103
	v_sub_f32_e32 v92, v86, v150
	;; [unrolled: 1-line block ×3, first 2 shown]
	v_fma_f32 v75, v85, 2.0, -v79
	v_sub_f32_e32 v85, v89, v102
	v_sub_f32_e32 v102, v72, v152
	;; [unrolled: 1-line block ×3, first 2 shown]
	v_fma_f32 v74, v84, 2.0, -v78
	v_sub_f32_e32 v84, v88, v146
	v_sub_f32_e32 v94, v90, v100
	;; [unrolled: 1-line block ×8, first 2 shown]
	v_fma_f32 v100, v72, 2.0, -v102
	v_fma_f32 v101, v73, 2.0, -v103
	;; [unrolled: 1-line block ×14, first 2 shown]
	s_barrier
	buffer_gl0_inv
	ds_write2_b64 v162, v[74:75], v[78:79] offset1:2
	ds_write2_b64 v161, v[86:87], v[92:93] offset1:2
	;; [unrolled: 1-line block ×7, first 2 shown]
	s_and_saveexec_b32 s1, vcc_lo
	s_cbranch_execz .LBB0_29
; %bb.28:
	v_and_or_b32 v72, 0x37c, v147, v148
	v_lshlrev_b32_e32 v72, 3, v72
	ds_write2_b64 v72, v[100:101], v[102:103] offset1:2
.LBB0_29:
	s_or_b32 exec_lo, exec_lo, s1
	v_add_nc_u32_e32 v72, 0x800, v143
	v_add_nc_u32_e32 v76, 0xc00, v143
	;; [unrolled: 1-line block ×4, first 2 shown]
	s_waitcnt lgkmcnt(0)
	s_barrier
	buffer_gl0_inv
	ds_read2_b64 v[80:83], v143 offset1:56
	ds_read2_b64 v[72:75], v72 offset0:80 offset1:164
	ds_read2_b64 v[96:99], v76 offset0:92 offset1:148
	;; [unrolled: 1-line block ×6, first 2 shown]
	s_and_saveexec_b32 s1, vcc_lo
	s_cbranch_execz .LBB0_31
; %bb.30:
	ds_read_b64 v[100:101], v143 offset:3136
	ds_read_b64 v[102:103], v143 offset:6496
.LBB0_31:
	s_or_b32 exec_lo, exec_lo, s1
	s_waitcnt lgkmcnt(4)
	v_mul_f32_e32 v145, v138, v97
	v_mul_f32_e32 v148, v138, v99
	;; [unrolled: 1-line block ×5, first 2 shown]
	v_fmac_f32_e32 v145, v137, v96
	v_mul_f32_e32 v96, v138, v98
	v_fmac_f32_e32 v148, v137, v98
	s_waitcnt lgkmcnt(2)
	v_mul_f32_e32 v98, v138, v92
	v_fmac_f32_e32 v135, v137, v74
	v_fma_f32 v74, v137, v75, -v136
	v_fma_f32 v75, v137, v97, -v146
	v_mul_f32_e32 v97, v138, v93
	v_fma_f32 v98, v137, v93, -v98
	s_waitcnt lgkmcnt(0)
	v_mul_f32_e32 v93, v138, v90
	v_mul_f32_e32 v136, v138, v95
	v_fma_f32 v96, v137, v99, -v96
	v_mul_f32_e32 v99, v138, v94
	v_fmac_f32_e32 v97, v137, v92
	v_mul_f32_e32 v146, v138, v89
	v_mul_f32_e32 v92, v138, v88
	;; [unrolled: 1-line block ×4, first 2 shown]
	v_fma_f32 v153, v137, v91, -v93
	v_mul_f32_e32 v91, v138, v102
	v_fmac_f32_e32 v136, v137, v94
	v_fma_f32 v99, v137, v95, -v99
	v_fmac_f32_e32 v146, v137, v88
	v_fma_f32 v152, v137, v89, -v92
	v_fmac_f32_e32 v150, v137, v90
	v_fmac_f32_e32 v151, v137, v102
	v_sub_f32_e32 v88, v80, v135
	v_sub_f32_e32 v89, v81, v74
	v_fma_f32 v135, v137, v103, -v91
	v_sub_f32_e32 v90, v82, v145
	v_sub_f32_e32 v91, v83, v75
	;; [unrolled: 1-line block ×8, first 2 shown]
	v_fma_f32 v80, v80, 2.0, -v88
	v_fma_f32 v81, v81, 2.0, -v89
	v_sub_f32_e32 v98, v78, v146
	v_sub_f32_e32 v99, v79, v152
	;; [unrolled: 1-line block ×6, first 2 shown]
	v_fma_f32 v82, v82, 2.0, -v90
	v_fma_f32 v83, v83, 2.0, -v91
	;; [unrolled: 1-line block ×12, first 2 shown]
	s_barrier
	buffer_gl0_inv
	ds_write2_b64 v170, v[80:81], v[88:89] offset1:4
	ds_write2_b64 v168, v[82:83], v[90:91] offset1:4
	;; [unrolled: 1-line block ×7, first 2 shown]
	s_and_saveexec_b32 s1, vcc_lo
	s_cbranch_execz .LBB0_33
; %bb.32:
	v_and_or_b32 v76, 0x378, v147, v149
	v_fma_f32 v73, v101, 2.0, -v75
	v_fma_f32 v72, v100, 2.0, -v74
	v_lshlrev_b32_e32 v76, 3, v76
	ds_write2_b64 v76, v[72:73], v[74:75] offset1:4
.LBB0_33:
	s_or_b32 exec_lo, exec_lo, s1
	v_add_nc_u32_e32 v78, 0x400, v143
	v_add_nc_u32_e32 v76, 0x1000, v143
	;; [unrolled: 1-line block ×3, first 2 shown]
	s_waitcnt lgkmcnt(0)
	s_barrier
	buffer_gl0_inv
	ds_read2_b64 v[79:82], v78 offset0:96 offset1:152
	ds_read2_b64 v[83:86], v76 offset0:48 offset1:104
	;; [unrolled: 1-line block ×3, first 2 shown]
	ds_read2_b64 v[91:94], v143 offset1:56
	ds_read2_b64 v[95:98], v143 offset0:112 offset1:168
	ds_read_b64 v[72:73], v143 offset:6272
	ds_read2_b64 v[99:102], v76 offset0:160 offset1:216
	ds_read2_b64 v[135:138], v77 offset0:192 offset1:248
	s_waitcnt lgkmcnt(0)
	s_barrier
	buffer_gl0_inv
	v_mul_f32_e32 v103, v1, v82
	v_mul_f32_e32 v146, v3, v84
	;; [unrolled: 1-line block ×9, first 2 shown]
	v_fmac_f32_e32 v146, v2, v83
	v_fma_f32 v83, v0, v88, -v149
	v_fmac_f32_e32 v150, v2, v85
	v_mul_f32_e32 v88, v3, v100
	v_mul_f32_e32 v85, v3, v99
	;; [unrolled: 1-line block ×3, first 2 shown]
	v_fmac_f32_e32 v103, v0, v81
	v_fma_f32 v81, v0, v82, -v145
	v_fma_f32 v82, v2, v84, -v147
	;; [unrolled: 1-line block ×4, first 2 shown]
	v_mul_f32_e32 v145, v1, v136
	v_fmac_f32_e32 v88, v2, v99
	v_fma_f32 v90, v2, v100, -v85
	v_mul_f32_e32 v99, v3, v102
	v_mul_f32_e32 v85, v3, v101
	v_fmac_f32_e32 v148, v0, v87
	v_mul_f32_e32 v87, v1, v135
	v_fmac_f32_e32 v145, v0, v135
	;; [unrolled: 2-line block ×3, first 2 shown]
	v_mul_f32_e32 v1, v1, v137
	v_fma_f32 v101, v2, v102, -v85
	v_mul_f32_e32 v102, v3, v73
	v_mul_f32_e32 v3, v3, v72
	v_fmac_f32_e32 v152, v0, v89
	v_fma_f32 v100, v0, v136, -v87
	v_fmac_f32_e32 v135, v0, v137
	v_fma_f32 v136, v0, v138, -v1
	v_add_f32_e32 v0, v103, v146
	v_add_f32_e32 v1, v91, v103
	v_fma_f32 v137, v2, v73, -v3
	v_add_f32_e32 v3, v81, v82
	v_sub_f32_e32 v73, v81, v82
	v_add_f32_e32 v81, v92, v81
	v_fmac_f32_e32 v102, v2, v72
	v_fma_f32 v0, -0.5, v0, v91
	v_add_f32_e32 v2, v1, v146
	v_fma_f32 v1, -0.5, v3, v92
	v_sub_f32_e32 v85, v103, v146
	v_add_f32_e32 v3, v81, v82
	v_add_f32_e32 v81, v148, v150
	v_fmamk_f32 v72, v73, 0xbf5db3d7, v0
	v_fmac_f32_e32 v0, 0x3f5db3d7, v73
	v_fmamk_f32 v73, v85, 0x3f5db3d7, v1
	v_add_f32_e32 v82, v93, v148
	v_fmac_f32_e32 v1, 0xbf5db3d7, v85
	v_add_f32_e32 v85, v83, v84
	v_fma_f32 v93, -0.5, v81, v93
	v_sub_f32_e32 v87, v83, v84
	v_add_f32_e32 v81, v82, v150
	v_add_f32_e32 v82, v94, v83
	v_fmac_f32_e32 v94, -0.5, v85
	v_sub_f32_e32 v85, v148, v150
	v_fmamk_f32 v83, v87, 0xbf5db3d7, v93
	v_fmac_f32_e32 v93, 0x3f5db3d7, v87
	v_add_f32_e32 v87, v152, v88
	v_add_f32_e32 v82, v82, v84
	v_fmamk_f32 v84, v85, 0x3f5db3d7, v94
	v_add_f32_e32 v89, v95, v152
	v_fmac_f32_e32 v94, 0xbf5db3d7, v85
	v_add_f32_e32 v91, v86, v90
	v_fma_f32 v85, -0.5, v87, v95
	v_sub_f32_e32 v92, v86, v90
	v_add_f32_e32 v95, v96, v86
	v_add_f32_e32 v87, v89, v88
	v_fma_f32 v86, -0.5, v91, v96
	v_sub_f32_e32 v91, v152, v88
	v_fmamk_f32 v89, v92, 0xbf5db3d7, v85
	v_fmac_f32_e32 v85, 0x3f5db3d7, v92
	v_add_f32_e32 v88, v95, v90
	v_add_f32_e32 v92, v145, v99
	;; [unrolled: 1-line block ×4, first 2 shown]
	v_fmamk_f32 v90, v91, 0x3f5db3d7, v86
	v_fmac_f32_e32 v86, 0xbf5db3d7, v91
	v_fma_f32 v97, -0.5, v92, v97
	v_sub_f32_e32 v92, v100, v101
	v_add_f32_e32 v91, v95, v99
	v_add_f32_e32 v100, v98, v100
	v_fmac_f32_e32 v98, -0.5, v96
	v_sub_f32_e32 v99, v145, v99
	v_fmamk_f32 v95, v92, 0xbf5db3d7, v97
	v_fmac_f32_e32 v97, 0x3f5db3d7, v92
	v_add_f32_e32 v92, v100, v101
	v_add_f32_e32 v100, v135, v102
	v_fmamk_f32 v96, v99, 0x3f5db3d7, v98
	v_fmac_f32_e32 v98, 0xbf5db3d7, v99
	v_add_f32_e32 v99, v136, v137
	v_add_f32_e32 v101, v79, v135
	v_fma_f32 v79, -0.5, v100, v79
	v_sub_f32_e32 v100, v136, v137
	v_add_f32_e32 v103, v80, v136
	v_fmac_f32_e32 v80, -0.5, v99
	v_sub_f32_e32 v135, v135, v102
	v_add_f32_e32 v99, v101, v102
	v_fmamk_f32 v101, v100, 0xbf5db3d7, v79
	v_fmac_f32_e32 v79, 0x3f5db3d7, v100
	v_add_f32_e32 v100, v103, v137
	v_fmamk_f32 v102, v135, 0x3f5db3d7, v80
	v_fmac_f32_e32 v80, 0xbf5db3d7, v135
	ds_write2_b64 v179, v[2:3], v[72:73] offset1:8
	ds_write_b64 v179, v[0:1] offset:128
	ds_write2_b64 v178, v[81:82], v[83:84] offset1:8
	ds_write_b64 v178, v[93:94] offset:128
	;; [unrolled: 2-line block ×5, first 2 shown]
	s_waitcnt lgkmcnt(0)
	s_barrier
	buffer_gl0_inv
	ds_read2_b64 v[0:3], v143 offset0:112 offset1:168
	ds_read2_b64 v[79:82], v77 offset0:80 offset1:136
	;; [unrolled: 1-line block ×5, first 2 shown]
	ds_read2_b64 v[95:98], v143 offset1:56
	ds_read2_b64 v[99:102], v76 offset0:48 offset1:104
	ds_read_b64 v[72:73], v143 offset:6272
	s_waitcnt lgkmcnt(0)
	s_barrier
	buffer_gl0_inv
	v_mul_f32_e32 v103, v37, v3
	v_mul_f32_e32 v37, v37, v2
	;; [unrolled: 1-line block ×5, first 2 shown]
	v_fmac_f32_e32 v103, v36, v2
	v_fma_f32 v36, v36, v3, -v37
	v_mul_f32_e32 v2, v33, v85
	v_mul_f32_e32 v33, v35, v88
	;; [unrolled: 1-line block ×3, first 2 shown]
	v_fma_f32 v37, v38, v80, -v39
	v_fmac_f32_e32 v136, v32, v85
	v_fma_f32 v32, v32, v86, -v2
	v_fmac_f32_e32 v33, v34, v87
	v_fma_f32 v34, v34, v88, -v3
	v_mul_f32_e32 v39, v31, v82
	v_mul_f32_e32 v2, v31, v81
	;; [unrolled: 1-line block ×5, first 2 shown]
	v_fmac_f32_e32 v39, v30, v81
	v_fma_f32 v80, v30, v82, -v2
	v_fma_f32 v81, v24, v100, -v3
	v_mul_f32_e32 v82, v21, v94
	v_mul_f32_e32 v3, v21, v93
	;; [unrolled: 1-line block ×4, first 2 shown]
	v_fmac_f32_e32 v135, v38, v79
	v_fmac_f32_e32 v35, v28, v91
	v_fma_f32 v38, v28, v92, -v29
	v_mul_f32_e32 v28, v27, v90
	v_mul_f32_e32 v2, v27, v89
	v_fma_f32 v87, v20, v94, -v3
	v_fmac_f32_e32 v85, v22, v83
	v_fma_f32 v83, v22, v84, -v21
	v_mul_f32_e32 v84, v17, v102
	v_mul_f32_e32 v3, v17, v101
	v_add_f32_e32 v17, v95, v103
	v_mul_f32_e32 v79, v25, v100
	v_fmac_f32_e32 v28, v26, v89
	v_fma_f32 v86, v26, v90, -v2
	v_add_f32_e32 v2, v135, v136
	v_fma_f32 v89, v16, v102, -v3
	v_add_f32_e32 v3, v17, v135
	v_fmac_f32_e32 v79, v24, v99
	v_fmac_f32_e32 v82, v20, v93
	v_mul_f32_e32 v88, v19, v73
	v_fma_f32 v2, -0.5, v2, v95
	v_sub_f32_e32 v20, v36, v34
	v_sub_f32_e32 v21, v103, v135
	;; [unrolled: 1-line block ×3, first 2 shown]
	v_add_f32_e32 v23, v103, v33
	v_mul_f32_e32 v24, v19, v72
	v_add_f32_e32 v3, v3, v136
	v_fmac_f32_e32 v84, v16, v101
	v_fmac_f32_e32 v88, v18, v72
	v_fmamk_f32 v16, v20, 0xbf737871, v2
	v_sub_f32_e32 v17, v37, v32
	v_add_f32_e32 v22, v21, v22
	v_fma_f32 v19, -0.5, v23, v95
	v_fma_f32 v18, v18, v73, -v24
	v_add_f32_e32 v21, v3, v33
	v_fmac_f32_e32 v2, 0x3f737871, v20
	v_sub_f32_e32 v3, v135, v103
	v_sub_f32_e32 v24, v136, v33
	v_add_f32_e32 v25, v96, v36
	v_add_f32_e32 v26, v37, v32
	v_fmac_f32_e32 v16, 0xbf167918, v17
	v_fmamk_f32 v23, v17, 0x3f737871, v19
	v_fmac_f32_e32 v2, 0x3f167918, v17
	v_add_f32_e32 v24, v3, v24
	v_fmac_f32_e32 v19, 0xbf737871, v17
	v_add_f32_e32 v17, v25, v37
	v_fma_f32 v3, -0.5, v26, v96
	v_sub_f32_e32 v26, v103, v33
	v_fmac_f32_e32 v16, 0x3e9e377a, v22
	v_fmac_f32_e32 v23, 0xbf167918, v20
	;; [unrolled: 1-line block ×4, first 2 shown]
	v_add_f32_e32 v22, v17, v32
	v_fmamk_f32 v17, v26, 0x3f737871, v3
	v_add_f32_e32 v20, v36, v34
	v_sub_f32_e32 v27, v135, v136
	v_sub_f32_e32 v25, v36, v37
	;; [unrolled: 1-line block ×3, first 2 shown]
	v_fmac_f32_e32 v3, 0xbf737871, v26
	v_fma_f32 v20, -0.5, v20, v96
	v_fmac_f32_e32 v17, 0x3f167918, v27
	v_sub_f32_e32 v30, v32, v34
	v_add_f32_e32 v29, v25, v29
	v_fmac_f32_e32 v3, 0xbf167918, v27
	v_add_f32_e32 v32, v97, v35
	v_fmac_f32_e32 v23, 0x3e9e377a, v24
	v_fmac_f32_e32 v19, 0x3e9e377a, v24
	v_fmamk_f32 v24, v27, 0xbf737871, v20
	v_sub_f32_e32 v25, v37, v36
	v_fmac_f32_e32 v17, 0x3e9e377a, v29
	v_add_f32_e32 v31, v39, v79
	v_fmac_f32_e32 v3, 0x3e9e377a, v29
	v_fmac_f32_e32 v20, 0x3f737871, v27
	v_add_f32_e32 v29, v32, v39
	v_add_f32_e32 v36, v35, v28
	;; [unrolled: 1-line block ×3, first 2 shown]
	v_fmac_f32_e32 v24, 0x3f167918, v26
	v_add_f32_e32 v30, v25, v30
	v_fma_f32 v25, -0.5, v31, v97
	v_sub_f32_e32 v33, v38, v86
	v_sub_f32_e32 v32, v80, v81
	;; [unrolled: 1-line block ×4, first 2 shown]
	v_fmac_f32_e32 v20, 0xbf167918, v26
	v_add_f32_e32 v26, v29, v79
	v_fma_f32 v97, -0.5, v36, v97
	v_fmac_f32_e32 v24, 0x3e9e377a, v30
	v_fmamk_f32 v27, v33, 0xbf737871, v25
	v_add_f32_e32 v34, v31, v34
	v_fmac_f32_e32 v20, 0x3e9e377a, v30
	v_add_f32_e32 v29, v26, v28
	v_fmac_f32_e32 v25, 0x3f737871, v33
	v_fmamk_f32 v31, v32, 0x3f737871, v97
	v_sub_f32_e32 v26, v39, v35
	v_sub_f32_e32 v30, v79, v28
	v_add_f32_e32 v36, v98, v38
	v_add_f32_e32 v37, v80, v81
	v_fmac_f32_e32 v97, 0xbf737871, v32
	v_fmac_f32_e32 v27, 0xbf167918, v32
	;; [unrolled: 1-line block ×4, first 2 shown]
	v_add_f32_e32 v30, v26, v30
	v_add_f32_e32 v32, v36, v80
	v_fma_f32 v26, -0.5, v37, v98
	v_sub_f32_e32 v35, v35, v28
	v_fmac_f32_e32 v97, 0x3f167918, v33
	v_add_f32_e32 v33, v38, v86
	v_sub_f32_e32 v36, v38, v80
	v_sub_f32_e32 v37, v86, v81
	v_fmac_f32_e32 v27, 0x3e9e377a, v34
	v_fmac_f32_e32 v25, 0x3e9e377a, v34
	v_add_f32_e32 v32, v32, v81
	v_fmamk_f32 v28, v35, 0x3f737871, v26
	v_sub_f32_e32 v34, v39, v79
	v_fmac_f32_e32 v98, -0.5, v33
	v_add_f32_e32 v33, v36, v37
	v_fmac_f32_e32 v26, 0xbf737871, v35
	v_sub_f32_e32 v36, v80, v38
	v_add_f32_e32 v38, v85, v84
	v_fmac_f32_e32 v31, 0x3e9e377a, v30
	v_fmac_f32_e32 v97, 0x3e9e377a, v30
	v_add_f32_e32 v30, v32, v86
	v_fmac_f32_e32 v28, 0x3f167918, v34
	v_fmamk_f32 v32, v34, 0xbf737871, v98
	v_sub_f32_e32 v37, v81, v86
	v_fmac_f32_e32 v26, 0xbf167918, v34
	v_fmac_f32_e32 v98, 0x3f737871, v34
	v_fma_f32 v72, -0.5, v38, v0
	v_sub_f32_e32 v38, v87, v18
	v_fmac_f32_e32 v28, 0x3e9e377a, v33
	v_fmac_f32_e32 v32, 0x3f167918, v35
	v_add_f32_e32 v36, v36, v37
	v_add_f32_e32 v34, v0, v82
	v_fmac_f32_e32 v26, 0x3e9e377a, v33
	v_fmac_f32_e32 v98, 0xbf167918, v35
	v_fmamk_f32 v33, v38, 0xbf737871, v72
	v_sub_f32_e32 v39, v83, v89
	v_sub_f32_e32 v35, v82, v85
	;; [unrolled: 1-line block ×3, first 2 shown]
	v_fmac_f32_e32 v72, 0x3f737871, v38
	v_add_f32_e32 v73, v82, v88
	v_add_f32_e32 v34, v34, v85
	v_fmac_f32_e32 v33, 0xbf167918, v39
	v_add_f32_e32 v37, v35, v37
	v_fmac_f32_e32 v72, 0x3f167918, v39
	v_fma_f32 v0, -0.5, v73, v0
	v_add_f32_e32 v34, v34, v84
	v_fmac_f32_e32 v32, 0x3e9e377a, v36
	v_fmac_f32_e32 v33, 0x3e9e377a, v37
	;; [unrolled: 1-line block ×3, first 2 shown]
	v_fmamk_f32 v37, v39, 0x3f737871, v0
	v_fmac_f32_e32 v0, 0xbf737871, v39
	v_add_f32_e32 v39, v1, v87
	v_fmac_f32_e32 v98, 0x3e9e377a, v36
	v_add_f32_e32 v35, v34, v88
	v_add_f32_e32 v34, v83, v89
	v_sub_f32_e32 v36, v85, v82
	v_sub_f32_e32 v79, v84, v88
	v_fmac_f32_e32 v37, 0xbf167918, v38
	v_fmac_f32_e32 v0, 0x3f167918, v38
	v_add_f32_e32 v38, v39, v83
	v_add_f32_e32 v39, v87, v18
	v_fma_f32 v73, -0.5, v34, v1
	v_sub_f32_e32 v80, v82, v88
	v_add_f32_e32 v36, v36, v79
	v_sub_f32_e32 v79, v85, v84
	v_fmac_f32_e32 v1, -0.5, v39
	v_sub_f32_e32 v39, v87, v83
	v_fmamk_f32 v34, v80, 0x3f737871, v73
	v_fmac_f32_e32 v37, 0x3e9e377a, v36
	v_fmac_f32_e32 v0, 0x3e9e377a, v36
	v_add_f32_e32 v36, v38, v89
	v_sub_f32_e32 v81, v18, v89
	v_fmac_f32_e32 v73, 0xbf737871, v80
	v_fmamk_f32 v38, v79, 0xbf737871, v1
	v_sub_f32_e32 v82, v83, v87
	v_sub_f32_e32 v83, v89, v18
	v_fmac_f32_e32 v1, 0x3f737871, v79
	v_fmac_f32_e32 v34, 0x3f167918, v79
	v_add_f32_e32 v39, v39, v81
	v_fmac_f32_e32 v73, 0xbf167918, v79
	v_fmac_f32_e32 v38, 0x3f167918, v80
	v_add_f32_e32 v79, v82, v83
	v_fmac_f32_e32 v1, 0xbf167918, v80
	v_add_f32_e32 v36, v36, v18
	v_fmac_f32_e32 v34, 0x3e9e377a, v39
	v_fmac_f32_e32 v73, 0x3e9e377a, v39
	;; [unrolled: 1-line block ×4, first 2 shown]
	ds_write2_b64 v176, v[21:22], v[16:17] offset1:24
	ds_write2_b64 v176, v[23:24], v[19:20] offset0:48 offset1:72
	ds_write_b64 v176, v[2:3] offset:768
	ds_write2_b64 v174, v[29:30], v[27:28] offset1:24
	ds_write2_b64 v174, v[31:32], v[97:98] offset0:48 offset1:72
	ds_write_b64 v174, v[25:26] offset:768
	;; [unrolled: 3-line block ×3, first 2 shown]
	v_add_nc_u32_e32 v16, 0xc00, v143
	v_add_nc_u32_e32 v17, 0x1400, v143
	s_waitcnt lgkmcnt(0)
	s_barrier
	buffer_gl0_inv
	ds_read2_b64 v[0:3], v143 offset1:56
	ds_read2_b64 v[36:39], v143 offset0:120 offset1:176
	ds_read2_b64 v[32:35], v78 offset0:112 offset1:168
	;; [unrolled: 1-line block ×6, first 2 shown]
	s_and_saveexec_b32 s1, s0
	s_cbranch_execz .LBB0_35
; %bb.34:
	ds_read2_b64 v[72:75], v143 offset0:112 offset1:232
	ds_read2_b64 v[64:67], v77 offset0:96 offset1:216
	;; [unrolled: 1-line block ×3, first 2 shown]
	ds_read_b64 v[141:142], v143 offset:6656
.LBB0_35:
	s_or_b32 exec_lo, exec_lo, s1
	s_waitcnt lgkmcnt(5)
	v_mul_f32_e32 v76, v61, v37
	v_mul_f32_e32 v61, v61, v36
	s_waitcnt lgkmcnt(4)
	v_mul_f32_e32 v77, v63, v33
	v_mul_f32_e32 v63, v63, v32
	v_fmac_f32_e32 v76, v60, v36
	v_fma_f32 v36, v60, v37, -v61
	v_fmac_f32_e32 v77, v62, v32
	v_fma_f32 v32, v62, v33, -v63
	s_waitcnt lgkmcnt(3)
	v_mul_f32_e32 v33, v53, v29
	v_mul_f32_e32 v37, v53, v28
	s_waitcnt lgkmcnt(2)
	v_mul_f32_e32 v53, v55, v25
	v_mul_f32_e32 v55, v55, v24
	s_waitcnt lgkmcnt(1)
	v_mul_f32_e32 v60, v41, v21
	v_fmac_f32_e32 v33, v52, v28
	v_fma_f32 v28, v52, v29, -v37
	v_fmac_f32_e32 v53, v54, v24
	v_fma_f32 v24, v54, v25, -v55
	v_fmac_f32_e32 v60, v40, v20
	v_mul_f32_e32 v20, v41, v20
	s_waitcnt lgkmcnt(0)
	v_mul_f32_e32 v25, v43, v17
	v_mul_f32_e32 v29, v43, v16
	;; [unrolled: 1-line block ×4, first 2 shown]
	v_fma_f32 v20, v40, v21, -v20
	v_fmac_f32_e32 v25, v42, v16
	v_fma_f32 v16, v42, v17, -v29
	v_fmac_f32_e32 v37, v56, v38
	v_fma_f32 v29, v56, v39, -v41
	v_mul_f32_e32 v38, v59, v35
	v_mul_f32_e32 v17, v59, v34
	;; [unrolled: 1-line block ×5, first 2 shown]
	v_fmac_f32_e32 v38, v58, v34
	v_fma_f32 v34, v58, v35, -v17
	v_fmac_f32_e32 v39, v48, v30
	v_fma_f32 v30, v48, v31, -v21
	v_mul_f32_e32 v17, v51, v26
	v_mul_f32_e32 v31, v45, v23
	v_mul_f32_e32 v21, v45, v22
	v_mul_f32_e32 v35, v47, v19
	v_fmac_f32_e32 v40, v50, v26
	v_mul_f32_e32 v26, v47, v18
	v_fma_f32 v41, v50, v27, -v17
	v_fmac_f32_e32 v31, v44, v22
	v_fma_f32 v42, v44, v23, -v21
	v_fmac_f32_e32 v35, v46, v18
	v_add_f32_e32 v17, v76, v25
	v_add_f32_e32 v18, v36, v16
	;; [unrolled: 1-line block ×4, first 2 shown]
	v_fma_f32 v43, v46, v19, -v26
	v_sub_f32_e32 v19, v76, v25
	v_sub_f32_e32 v16, v36, v16
	;; [unrolled: 1-line block ×4, first 2 shown]
	v_add_f32_e32 v25, v33, v53
	v_add_f32_e32 v26, v28, v24
	v_sub_f32_e32 v27, v53, v33
	v_sub_f32_e32 v24, v24, v28
	v_add_f32_e32 v28, v21, v17
	v_add_f32_e32 v32, v22, v18
	v_sub_f32_e32 v33, v21, v17
	v_sub_f32_e32 v36, v22, v18
	v_sub_f32_e32 v17, v17, v25
	v_sub_f32_e32 v18, v18, v26
	v_sub_f32_e32 v21, v25, v21
	v_sub_f32_e32 v22, v26, v22
	v_add_f32_e32 v44, v27, v23
	v_add_f32_e32 v45, v24, v20
	v_sub_f32_e32 v46, v27, v23
	v_sub_f32_e32 v47, v24, v20
	;; [unrolled: 1-line block ×3, first 2 shown]
	v_add_f32_e32 v25, v25, v28
	v_add_f32_e32 v26, v26, v32
	v_sub_f32_e32 v20, v20, v16
	v_sub_f32_e32 v27, v19, v27
	;; [unrolled: 1-line block ×3, first 2 shown]
	v_add_f32_e32 v19, v44, v19
	v_add_f32_e32 v16, v45, v16
	;; [unrolled: 1-line block ×4, first 2 shown]
	v_mul_f32_e32 v17, 0x3f4a47b2, v17
	v_mul_f32_e32 v18, 0x3f4a47b2, v18
	;; [unrolled: 1-line block ×8, first 2 shown]
	v_fmamk_f32 v25, v25, 0xbf955555, v0
	v_fmamk_f32 v26, v26, 0xbf955555, v1
	;; [unrolled: 1-line block ×4, first 2 shown]
	v_fma_f32 v28, 0x3f3bfb3b, v33, -v28
	v_fma_f32 v32, 0x3f3bfb3b, v36, -v32
	;; [unrolled: 1-line block ×4, first 2 shown]
	v_fmamk_f32 v33, v27, 0xbeae86e6, v44
	v_fmamk_f32 v36, v24, 0xbeae86e6, v45
	v_fma_f32 v23, 0xbf5ff5aa, v23, -v44
	v_fma_f32 v27, 0x3eae86e6, v27, -v46
	;; [unrolled: 1-line block ×4, first 2 shown]
	v_add_f32_e32 v45, v21, v25
	v_add_f32_e32 v46, v22, v26
	;; [unrolled: 1-line block ×6, first 2 shown]
	v_fmac_f32_e32 v33, 0xbee1c552, v19
	v_fmac_f32_e32 v36, 0xbee1c552, v16
	;; [unrolled: 1-line block ×6, first 2 shown]
	v_add_f32_e32 v16, v36, v45
	v_sub_f32_e32 v17, v46, v33
	v_add_f32_e32 v18, v24, v25
	v_sub_f32_e32 v19, v26, v27
	;; [unrolled: 2-line block ×3, first 2 shown]
	v_sub_f32_e32 v24, v25, v24
	v_add_f32_e32 v25, v27, v26
	v_sub_f32_e32 v26, v45, v36
	v_add_f32_e32 v27, v33, v46
	v_add_f32_e32 v28, v37, v35
	;; [unrolled: 1-line block ×3, first 2 shown]
	v_sub_f32_e32 v33, v37, v35
	v_add_f32_e32 v35, v38, v31
	v_add_f32_e32 v36, v34, v42
	v_sub_f32_e32 v29, v29, v43
	v_sub_f32_e32 v31, v38, v31
	;; [unrolled: 1-line block ×3, first 2 shown]
	v_add_f32_e32 v37, v39, v40
	v_add_f32_e32 v38, v30, v41
	v_sub_f32_e32 v39, v40, v39
	v_sub_f32_e32 v30, v41, v30
	v_add_f32_e32 v40, v35, v28
	v_add_f32_e32 v41, v36, v32
	v_sub_f32_e32 v20, v22, v44
	v_add_f32_e32 v22, v44, v22
	v_sub_f32_e32 v42, v35, v28
	v_sub_f32_e32 v43, v36, v32
	;; [unrolled: 1-line block ×6, first 2 shown]
	v_add_f32_e32 v44, v39, v31
	v_add_f32_e32 v45, v30, v34
	v_sub_f32_e32 v46, v39, v31
	v_sub_f32_e32 v47, v30, v34
	;; [unrolled: 1-line block ×3, first 2 shown]
	v_add_f32_e32 v37, v37, v40
	v_add_f32_e32 v38, v38, v41
	v_sub_f32_e32 v34, v34, v29
	v_sub_f32_e32 v39, v33, v39
	;; [unrolled: 1-line block ×3, first 2 shown]
	v_add_f32_e32 v33, v44, v33
	v_add_f32_e32 v29, v45, v29
	;; [unrolled: 1-line block ×4, first 2 shown]
	v_mul_f32_e32 v28, 0x3f4a47b2, v28
	v_mul_f32_e32 v32, 0x3f4a47b2, v32
	;; [unrolled: 1-line block ×8, first 2 shown]
	v_fmamk_f32 v37, v37, 0xbf955555, v2
	v_fmamk_f32 v38, v38, 0xbf955555, v3
	v_fmamk_f32 v35, v35, 0x3d64c772, v28
	v_fmamk_f32 v36, v36, 0x3d64c772, v32
	v_fma_f32 v40, 0x3f3bfb3b, v42, -v40
	v_fma_f32 v41, 0x3f3bfb3b, v43, -v41
	;; [unrolled: 1-line block ×4, first 2 shown]
	v_fmamk_f32 v42, v39, 0xbeae86e6, v44
	v_fmamk_f32 v43, v30, 0xbeae86e6, v45
	v_fma_f32 v44, 0xbf5ff5aa, v31, -v44
	v_fma_f32 v34, 0xbf5ff5aa, v34, -v45
	;; [unrolled: 1-line block ×4, first 2 shown]
	v_add_f32_e32 v46, v35, v37
	v_add_f32_e32 v47, v36, v38
	v_add_f32_e32 v35, v40, v37
	v_add_f32_e32 v36, v41, v38
	v_add_f32_e32 v37, v28, v37
	v_add_f32_e32 v38, v32, v38
	v_fmac_f32_e32 v42, 0xbee1c552, v33
	v_fmac_f32_e32 v43, 0xbee1c552, v29
	;; [unrolled: 1-line block ×6, first 2 shown]
	v_add_f32_e32 v28, v43, v46
	v_sub_f32_e32 v29, v47, v42
	v_add_f32_e32 v30, v45, v37
	v_sub_f32_e32 v31, v38, v39
	v_sub_f32_e32 v32, v35, v34
	v_add_f32_e32 v33, v44, v36
	v_add_f32_e32 v34, v34, v35
	v_sub_f32_e32 v35, v36, v44
	v_sub_f32_e32 v36, v37, v45
	v_add_f32_e32 v37, v39, v38
	v_sub_f32_e32 v38, v46, v43
	v_add_f32_e32 v39, v42, v47
	ds_write_b64 v143, v[16:17] offset:960
	ds_write_b64 v143, v[18:19] offset:1920
	;; [unrolled: 1-line block ×6, first 2 shown]
	ds_write2_b64 v143, v[0:1], v[2:3] offset1:56
	ds_write_b64 v143, v[28:29] offset:1408
	ds_write_b64 v143, v[30:31] offset:2368
	;; [unrolled: 1-line block ×6, first 2 shown]
	s_and_saveexec_b32 s1, s0
	s_cbranch_execz .LBB0_37
; %bb.36:
	v_mul_f32_e32 v1, v7, v69
	v_mul_f32_e32 v2, v5, v67
	;; [unrolled: 1-line block ×6, first 2 shown]
	v_fmac_f32_e32 v1, v6, v68
	v_fmac_f32_e32 v2, v4, v66
	v_fmac_f32_e32 v3, v10, v64
	v_fmac_f32_e32 v16, v12, v70
	v_fmac_f32_e32 v0, v8, v74
	v_fmac_f32_e32 v17, v14, v141
	v_sub_f32_e32 v18, v1, v2
	v_mul_f32_e32 v15, v15, v141
	v_sub_f32_e32 v19, v3, v16
	v_mul_f32_e32 v9, v9, v74
	v_mul_f32_e32 v13, v13, v70
	;; [unrolled: 1-line block ×5, first 2 shown]
	v_sub_f32_e32 v20, v0, v17
	v_fma_f32 v14, v14, v142, -v15
	v_fma_f32 v8, v8, v75, -v9
	v_fma_f32 v9, v12, v71, -v13
	v_fma_f32 v10, v10, v65, -v11
	v_add_f32_e32 v11, v18, v19
	v_fma_f32 v4, v4, v67, -v5
	v_fma_f32 v5, v6, v69, -v7
	v_add_f32_e32 v12, v14, v8
	v_add_f32_e32 v6, v9, v10
	;; [unrolled: 1-line block ×3, first 2 shown]
	v_sub_f32_e32 v21, v18, v19
	v_add_f32_e32 v11, v4, v5
	v_sub_f32_e32 v15, v20, v18
	v_add_f32_e32 v18, v6, v12
	v_add_f32_e32 v17, v17, v0
	v_add_f32_e32 v16, v16, v3
	v_sub_f32_e32 v22, v12, v11
	v_sub_f32_e32 v0, v11, v6
	v_add_f32_e32 v18, v11, v18
	v_add_f32_e32 v2, v2, v1
	;; [unrolled: 1-line block ×3, first 2 shown]
	v_mul_f32_e32 v11, 0x3f4a47b2, v22
	v_mul_f32_e32 v22, 0x3d64c772, v0
	v_add_f32_e32 v1, v73, v18
	v_sub_f32_e32 v4, v5, v4
	v_add_f32_e32 v3, v2, v3
	v_fmamk_f32 v23, v0, 0x3d64c772, v11
	v_sub_f32_e32 v0, v17, v2
	v_sub_f32_e32 v5, v10, v9
	;; [unrolled: 1-line block ×3, first 2 shown]
	v_fmamk_f32 v18, v18, 0xbf955555, v1
	v_sub_f32_e32 v2, v2, v16
	v_mul_f32_e32 v9, 0x3f4a47b2, v0
	v_add_f32_e32 v0, v72, v3
	v_sub_f32_e32 v10, v4, v5
	v_sub_f32_e32 v19, v19, v20
	;; [unrolled: 1-line block ×5, first 2 shown]
	v_mul_f32_e32 v21, 0x3f08b237, v21
	v_add_f32_e32 v14, v23, v18
	v_fmamk_f32 v23, v2, 0x3d64c772, v9
	v_fmamk_f32 v24, v3, 0xbf955555, v0
	v_sub_f32_e32 v25, v8, v4
	v_mul_f32_e32 v10, 0x3f08b237, v10
	v_add_f32_e32 v4, v4, v5
	v_mul_f32_e32 v2, 0x3d64c772, v2
	v_mul_f32_e32 v26, 0xbf5ff5aa, v19
	v_fma_f32 v5, 0xbf3bfb3b, v6, -v11
	v_mul_f32_e32 v11, 0xbf5ff5aa, v16
	v_fmamk_f32 v13, v15, 0xbeae86e6, v21
	v_add_f32_e32 v20, v23, v24
	v_fmamk_f32 v23, v25, 0xbeae86e6, v10
	v_add_f32_e32 v4, v4, v8
	v_fma_f32 v15, 0x3eae86e6, v15, -v26
	v_fma_f32 v9, 0xbf3bfb3b, v12, -v9
	v_add_f32_e32 v17, v5, v18
	v_fma_f32 v25, 0x3eae86e6, v25, -v11
	v_fma_f32 v5, 0x3f3bfb3b, v6, -v22
	;; [unrolled: 1-line block ×5, first 2 shown]
	v_fmac_f32_e32 v13, 0xbee1c552, v7
	v_fmac_f32_e32 v23, 0xbee1c552, v4
	;; [unrolled: 1-line block ×3, first 2 shown]
	v_add_f32_e32 v26, v9, v24
	v_fmac_f32_e32 v25, 0xbee1c552, v4
	v_add_f32_e32 v9, v5, v18
	v_fmac_f32_e32 v8, 0xbee1c552, v7
	v_fmac_f32_e32 v10, 0xbee1c552, v4
	v_add_f32_e32 v2, v2, v24
	v_add_f32_e32 v3, v13, v14
	v_sub_f32_e32 v13, v14, v13
	v_add_f32_e32 v12, v23, v20
	v_sub_f32_e32 v7, v9, v8
	v_add_f32_e32 v6, v10, v2
	v_add_f32_e32 v9, v8, v9
	v_sub_f32_e32 v8, v2, v10
	v_sub_f32_e32 v11, v17, v15
	v_add_f32_e32 v10, v25, v26
	v_add_nc_u32_e32 v14, 0x800, v143
	v_add_f32_e32 v5, v15, v17
	v_sub_f32_e32 v4, v26, v25
	v_add_nc_u32_e32 v15, 0x1000, v143
	v_sub_f32_e32 v2, v20, v23
	ds_write2_b64 v143, v[0:1], v[12:13] offset0:112 offset1:232
	ds_write2_b64 v14, v[10:11], v[8:9] offset0:96 offset1:216
	;; [unrolled: 1-line block ×3, first 2 shown]
	ds_write_b64 v143, v[2:3] offset:6656
.LBB0_37:
	s_or_b32 exec_lo, exec_lo, s1
	v_add_nc_u32_e32 v4, 0x800, v143
	s_waitcnt lgkmcnt(0)
	s_barrier
	buffer_gl0_inv
	ds_read2_b64 v[0:3], v143 offset1:56
	ds_read2_b64 v[4:7], v4 offset0:80 offset1:164
	v_add_nc_u32_e32 v12, 0xc00, v143
	v_mad_u64_u32 v[16:17], null, s10, v106, 0
	v_mad_u64_u32 v[18:19], null, s8, v144, 0
	ds_read2_b64 v[12:15], v12 offset0:92 offset1:148
	ds_read2_b64 v[8:11], v143 offset0:112 offset1:168
	s_mov_b32 s2, 0x13813814
	s_mov_b32 s3, 0x3f538138
	s_mul_i32 s1, s9, 0x1a4
	s_mul_hi_u32 s4, s8, 0x1a4
	v_mad_u64_u32 v[24:25], null, s11, v106, v[17:18]
	s_mul_i32 s0, s8, 0x1a4
	s_mul_hi_u32 s5, s8, 0xfffffe94
	s_add_i32 s1, s4, s1
	s_mul_i32 s12, s8, 0xfffffe94
	s_sub_i32 s8, s5, s8
	s_waitcnt lgkmcnt(3)
	v_mul_f32_e32 v20, v114, v1
	v_mul_f32_e32 v21, v114, v0
	s_waitcnt lgkmcnt(2)
	v_mul_f32_e32 v22, v132, v7
	v_mul_f32_e32 v23, v132, v6
	;; [unrolled: 1-line block ×3, first 2 shown]
	v_fmac_f32_e32 v20, v113, v0
	v_fma_f32 v21, v113, v1, -v21
	v_fmac_f32_e32 v22, v131, v6
	v_fma_f32 v23, v131, v7, -v23
	v_mul_f32_e32 v27, v124, v3
	v_cvt_f64_f32_e32 v[0:1], v20
	v_cvt_f64_f32_e32 v[6:7], v21
	;; [unrolled: 1-line block ×4, first 2 shown]
	v_fma_f32 v17, v123, v3, -v28
	s_waitcnt lgkmcnt(1)
	v_mul_f32_e32 v28, v130, v13
	v_fmac_f32_e32 v27, v123, v2
	s_waitcnt lgkmcnt(0)
	v_mul_f32_e32 v29, v126, v9
	v_mul_f32_e32 v31, v126, v8
	;; [unrolled: 1-line block ×3, first 2 shown]
	v_fmac_f32_e32 v28, v129, v12
	v_cvt_f64_f32_e32 v[2:3], v27
	v_fmac_f32_e32 v29, v125, v8
	s_lshl_b64 s[4:5], s[0:1], 3
	v_fmac_f32_e32 v33, v133, v14
	v_add_nc_u32_e32 v32, 0x1000, v143
	s_mul_i32 s10, s9, 0xfffffe94
	v_mul_f32_e32 v37, v120, v4
	s_add_i32 s13, s8, s10
	v_mul_f32_e32 v36, v120, v5
	v_fma_f32 v37, v119, v5, -v37
	v_mul_f64 v[0:1], v[0:1], s[2:3]
	v_mad_u64_u32 v[25:26], null, s9, v144, v[19:20]
	v_mul_f32_e32 v19, v130, v12
	v_cvt_f64_f32_e32 v[26:27], v17
	v_mul_f64 v[6:7], v[6:7], s[2:3]
	v_mul_f64 v[20:21], v[20:21], s[2:3]
	;; [unrolled: 1-line block ×3, first 2 shown]
	v_fma_f32 v30, v129, v13, -v19
	v_mov_b32_e32 v17, v24
	v_mov_b32_e32 v19, v25
	v_cvt_f64_f32_e32 v[12:13], v28
	v_fma_f32 v28, v125, v9, -v31
	v_cvt_f64_f32_e32 v[24:25], v30
	v_lshlrev_b64 v[8:9], 3, v[16:17]
	v_mul_f32_e32 v30, v134, v14
	v_lshlrev_b64 v[16:17], 3, v[18:19]
	v_cvt_f64_f32_e32 v[18:19], v29
	v_cvt_f64_f32_e32 v[28:29], v28
	v_fmac_f32_e32 v36, v119, v4
	v_fma_f32 v34, v133, v15, -v30
	v_mul_f64 v[14:15], v[2:3], s[2:3]
	v_cvt_f32_f64_e32 v30, v[0:1]
	v_add_co_u32 v0, s0, s6, v8
	v_add_co_ci_u32_e64 v1, s0, s7, v9, s0
	v_mul_f64 v[26:27], v[26:27], s[2:3]
	v_cvt_f32_f64_e32 v31, v[6:7]
	v_cvt_f32_f64_e32 v6, v[20:21]
	;; [unrolled: 1-line block ×3, first 2 shown]
	v_add_co_u32 v16, s0, v0, v16
	v_mul_f64 v[8:9], v[12:13], s[2:3]
	v_add_co_ci_u32_e64 v17, s0, v1, v17, s0
	v_mul_f64 v[12:13], v[24:25], s[2:3]
	ds_read2_b64 v[0:3], v32 offset0:76 offset1:132
	v_add_co_u32 v24, s0, v16, s4
	v_add_co_ci_u32_e64 v25, s0, s5, v17, s0
	s_lshl_b64 s[6:7], s[12:13], 3
	v_cvt_f64_f32_e32 v[22:23], v34
	v_cvt_f32_f64_e32 v14, v[14:15]
	global_store_dwordx2 v[16:17], v[30:31], off
	global_store_dwordx2 v[24:25], v[6:7], off
	v_cvt_f32_f64_e32 v15, v[26:27]
	v_add_co_u32 v16, s0, v24, s6
	v_add_co_ci_u32_e64 v17, s0, s7, v25, s0
	v_cvt_f32_f64_e32 v24, v[8:9]
	v_cvt_f32_f64_e32 v25, v[12:13]
	v_mul_f64 v[12:13], v[18:19], s[2:3]
	v_mul_f32_e32 v6, v116, v11
	v_cvt_f64_f32_e32 v[20:21], v33
	v_mul_f32_e32 v7, v116, v10
	v_add_nc_u32_e32 v8, 0x400, v143
	v_mul_f64 v[18:19], v[28:29], s[2:3]
	v_fmac_f32_e32 v6, v115, v10
	s_waitcnt lgkmcnt(0)
	v_mul_f32_e32 v10, v128, v1
	v_mul_f32_e32 v28, v128, v0
	v_fma_f32 v11, v115, v11, -v7
	v_mul_f64 v[22:23], v[22:23], s[2:3]
	v_cvt_f64_f32_e32 v[26:27], v6
	ds_read2_b64 v[6:9], v8 offset0:96 offset1:152
	v_fmac_f32_e32 v10, v127, v0
	v_fma_f32 v28, v127, v1, -v28
	v_add_co_u32 v0, s0, v16, s4
	v_add_co_ci_u32_e64 v1, s0, s5, v17, s0
	global_store_dwordx2 v[16:17], v[14:15], off
	v_cvt_f64_f32_e32 v[14:15], v11
	v_cvt_f64_f32_e32 v[16:17], v10
	;; [unrolled: 1-line block ×3, first 2 shown]
	global_store_dwordx2 v[0:1], v[24:25], off
	v_cvt_f32_f64_e32 v24, v[12:13]
	ds_read2_b64 v[10:13], v32 offset0:188 offset1:244
	v_mul_f64 v[20:21], v[20:21], s[2:3]
	v_cvt_f32_f64_e32 v25, v[18:19]
	v_add_co_u32 v0, s0, v0, s6
	v_add_co_ci_u32_e64 v1, s0, s7, v1, s0
	s_waitcnt lgkmcnt(1)
	v_mul_f32_e32 v30, v108, v7
	v_mul_f32_e32 v31, v108, v6
	v_cvt_f32_f64_e32 v19, v[22:23]
	v_mul_f64 v[22:23], v[26:27], s[2:3]
	v_mul_f32_e32 v32, v112, v9
	v_fmac_f32_e32 v30, v107, v6
	v_fma_f32 v31, v107, v7, -v31
	v_mul_f32_e32 v33, v112, v8
	v_fmac_f32_e32 v32, v111, v8
	v_mul_f64 v[6:7], v[14:15], s[2:3]
	v_mul_f64 v[14:15], v[16:17], s[2:3]
	;; [unrolled: 1-line block ×3, first 2 shown]
	v_cvt_f64_f32_e32 v[26:27], v30
	v_cvt_f64_f32_e32 v[28:29], v31
	v_mul_f32_e32 v30, v118, v3
	v_mul_f32_e32 v31, v118, v2
	s_waitcnt lgkmcnt(0)
	v_mul_f32_e32 v34, v110, v11
	v_cvt_f32_f64_e32 v18, v[20:21]
	v_mul_f32_e32 v38, v122, v13
	v_fmac_f32_e32 v30, v117, v2
	v_fma_f32 v31, v117, v3, -v31
	v_fmac_f32_e32 v34, v109, v10
	v_mul_f32_e32 v10, v110, v10
	v_mul_f32_e32 v39, v122, v12
	v_fma_f32 v33, v111, v9, -v33
	v_cvt_f64_f32_e32 v[2:3], v30
	v_cvt_f64_f32_e32 v[8:9], v31
	v_fma_f32 v10, v109, v11, -v10
	v_fmac_f32_e32 v38, v121, v12
	v_fma_f32 v39, v121, v13, -v39
	v_cvt_f64_f32_e32 v[30:31], v32
	v_cvt_f64_f32_e32 v[32:33], v33
	;; [unrolled: 1-line block ×8, first 2 shown]
	v_add_co_u32 v20, s0, v0, s4
	v_add_co_ci_u32_e64 v21, s0, s5, v1, s0
	global_store_dwordx2 v[0:1], v[24:25], off
	global_store_dwordx2 v[20:21], v[18:19], off
	v_cvt_f32_f64_e32 v1, v[6:7]
	v_mul_f64 v[6:7], v[26:27], s[2:3]
	v_mul_f64 v[18:19], v[28:29], s[2:3]
	;; [unrolled: 1-line block ×4, first 2 shown]
	v_cvt_f32_f64_e32 v0, v[22:23]
	v_cvt_f32_f64_e32 v14, v[14:15]
	;; [unrolled: 1-line block ×3, first 2 shown]
	v_mul_f64 v[16:17], v[30:31], s[2:3]
	v_mul_f64 v[22:23], v[32:33], s[2:3]
	;; [unrolled: 1-line block ×4, first 2 shown]
	v_add_co_u32 v20, s0, v20, s6
	v_mul_f64 v[24:25], v[34:35], s[2:3]
	v_mul_f64 v[10:11], v[10:11], s[2:3]
	v_add_co_ci_u32_e64 v21, s0, s7, v21, s0
	v_mul_f64 v[26:27], v[36:37], s[2:3]
	v_mul_f64 v[28:29], v[38:39], s[2:3]
	v_add_co_u32 v30, s0, v20, s4
	v_add_co_ci_u32_e64 v31, s0, s5, v21, s0
	v_cvt_f32_f64_e32 v6, v[6:7]
	v_cvt_f32_f64_e32 v7, v[18:19]
	v_add_co_u32 v18, s0, v30, s6
	v_add_co_ci_u32_e64 v19, s0, s7, v31, s0
	v_cvt_f32_f64_e32 v2, v[2:3]
	v_cvt_f32_f64_e32 v3, v[8:9]
	;; [unrolled: 4-line block ×3, first 2 shown]
	v_cvt_f32_f64_e32 v23, v[4:5]
	v_cvt_f32_f64_e32 v5, v[12:13]
	v_add_co_u32 v12, s0, v8, s6
	v_cvt_f32_f64_e32 v22, v[24:25]
	v_add_co_ci_u32_e64 v13, s0, s7, v9, s0
	v_cvt_f32_f64_e32 v4, v[10:11]
	v_cvt_f32_f64_e32 v10, v[26:27]
	;; [unrolled: 1-line block ×3, first 2 shown]
	global_store_dwordx2 v[20:21], v[0:1], off
	v_add_co_u32 v20, s0, v12, s4
	v_add_co_ci_u32_e64 v21, s0, s5, v13, s0
	global_store_dwordx2 v[30:31], v[14:15], off
	v_add_co_u32 v14, s0, v20, s6
	v_add_co_ci_u32_e64 v15, s0, s7, v21, s0
	;; [unrolled: 3-line block ×3, first 2 shown]
	global_store_dwordx2 v[8:9], v[2:3], off
	global_store_dwordx2 v[12:13], v[16:17], off
	;; [unrolled: 1-line block ×5, first 2 shown]
	s_and_b32 exec_lo, exec_lo, vcc_lo
	s_cbranch_execz .LBB0_39
; %bb.38:
	global_load_dwordx2 v[2:3], v[104:105], off offset:1088
	ds_read_b64 v[4:5], v143 offset:3136
	ds_read_b64 v[6:7], v143 offset:6496
	v_add_co_u32 v0, vcc_lo, v0, s6
	v_add_co_ci_u32_e32 v1, vcc_lo, s7, v1, vcc_lo
	s_waitcnt vmcnt(0) lgkmcnt(1)
	v_mul_f32_e32 v8, v5, v3
	v_mul_f32_e32 v3, v4, v3
	v_fmac_f32_e32 v8, v4, v2
	v_fma_f32 v4, v2, v5, -v3
	v_cvt_f64_f32_e32 v[2:3], v8
	v_cvt_f64_f32_e32 v[4:5], v4
	v_mul_f64 v[2:3], v[2:3], s[2:3]
	v_mul_f64 v[4:5], v[4:5], s[2:3]
	v_cvt_f32_f64_e32 v2, v[2:3]
	v_cvt_f32_f64_e32 v3, v[4:5]
	global_store_dwordx2 v[0:1], v[2:3], off
	global_load_dwordx2 v[2:3], v[139:140], off offset:352
	v_add_co_u32 v0, vcc_lo, v0, s4
	v_add_co_ci_u32_e32 v1, vcc_lo, s5, v1, vcc_lo
	s_waitcnt vmcnt(0) lgkmcnt(0)
	v_mul_f32_e32 v4, v7, v3
	v_mul_f32_e32 v3, v6, v3
	v_fmac_f32_e32 v4, v6, v2
	v_fma_f32 v5, v2, v7, -v3
	v_cvt_f64_f32_e32 v[2:3], v4
	v_cvt_f64_f32_e32 v[4:5], v5
	v_mul_f64 v[2:3], v[2:3], s[2:3]
	v_mul_f64 v[4:5], v[4:5], s[2:3]
	v_cvt_f32_f64_e32 v2, v[2:3]
	v_cvt_f32_f64_e32 v3, v[4:5]
	global_store_dwordx2 v[0:1], v[2:3], off
.LBB0_39:
	s_endpgm
	.section	.rodata,"a",@progbits
	.p2align	6, 0x0
	.amdhsa_kernel bluestein_single_back_len840_dim1_sp_op_CI_CI
		.amdhsa_group_segment_fixed_size 6720
		.amdhsa_private_segment_fixed_size 0
		.amdhsa_kernarg_size 104
		.amdhsa_user_sgpr_count 6
		.amdhsa_user_sgpr_private_segment_buffer 1
		.amdhsa_user_sgpr_dispatch_ptr 0
		.amdhsa_user_sgpr_queue_ptr 0
		.amdhsa_user_sgpr_kernarg_segment_ptr 1
		.amdhsa_user_sgpr_dispatch_id 0
		.amdhsa_user_sgpr_flat_scratch_init 0
		.amdhsa_user_sgpr_private_segment_size 0
		.amdhsa_wavefront_size32 1
		.amdhsa_uses_dynamic_stack 0
		.amdhsa_system_sgpr_private_segment_wavefront_offset 0
		.amdhsa_system_sgpr_workgroup_id_x 1
		.amdhsa_system_sgpr_workgroup_id_y 0
		.amdhsa_system_sgpr_workgroup_id_z 0
		.amdhsa_system_sgpr_workgroup_info 0
		.amdhsa_system_vgpr_workitem_id 0
		.amdhsa_next_free_vgpr 220
		.amdhsa_next_free_sgpr 16
		.amdhsa_reserve_vcc 1
		.amdhsa_reserve_flat_scratch 0
		.amdhsa_float_round_mode_32 0
		.amdhsa_float_round_mode_16_64 0
		.amdhsa_float_denorm_mode_32 3
		.amdhsa_float_denorm_mode_16_64 3
		.amdhsa_dx10_clamp 1
		.amdhsa_ieee_mode 1
		.amdhsa_fp16_overflow 0
		.amdhsa_workgroup_processor_mode 1
		.amdhsa_memory_ordered 1
		.amdhsa_forward_progress 0
		.amdhsa_shared_vgpr_count 0
		.amdhsa_exception_fp_ieee_invalid_op 0
		.amdhsa_exception_fp_denorm_src 0
		.amdhsa_exception_fp_ieee_div_zero 0
		.amdhsa_exception_fp_ieee_overflow 0
		.amdhsa_exception_fp_ieee_underflow 0
		.amdhsa_exception_fp_ieee_inexact 0
		.amdhsa_exception_int_div_zero 0
	.end_amdhsa_kernel
	.text
.Lfunc_end0:
	.size	bluestein_single_back_len840_dim1_sp_op_CI_CI, .Lfunc_end0-bluestein_single_back_len840_dim1_sp_op_CI_CI
                                        ; -- End function
	.section	.AMDGPU.csdata,"",@progbits
; Kernel info:
; codeLenInByte = 16420
; NumSgprs: 18
; NumVgprs: 220
; ScratchSize: 0
; MemoryBound: 0
; FloatMode: 240
; IeeeMode: 1
; LDSByteSize: 6720 bytes/workgroup (compile time only)
; SGPRBlocks: 2
; VGPRBlocks: 27
; NumSGPRsForWavesPerEU: 18
; NumVGPRsForWavesPerEU: 220
; Occupancy: 4
; WaveLimiterHint : 1
; COMPUTE_PGM_RSRC2:SCRATCH_EN: 0
; COMPUTE_PGM_RSRC2:USER_SGPR: 6
; COMPUTE_PGM_RSRC2:TRAP_HANDLER: 0
; COMPUTE_PGM_RSRC2:TGID_X_EN: 1
; COMPUTE_PGM_RSRC2:TGID_Y_EN: 0
; COMPUTE_PGM_RSRC2:TGID_Z_EN: 0
; COMPUTE_PGM_RSRC2:TIDIG_COMP_CNT: 0
	.text
	.p2alignl 6, 3214868480
	.fill 48, 4, 3214868480
	.type	__hip_cuid_ca372eea10ad4fbe,@object ; @__hip_cuid_ca372eea10ad4fbe
	.section	.bss,"aw",@nobits
	.globl	__hip_cuid_ca372eea10ad4fbe
__hip_cuid_ca372eea10ad4fbe:
	.byte	0                               ; 0x0
	.size	__hip_cuid_ca372eea10ad4fbe, 1

	.ident	"AMD clang version 19.0.0git (https://github.com/RadeonOpenCompute/llvm-project roc-6.4.0 25133 c7fe45cf4b819c5991fe208aaa96edf142730f1d)"
	.section	".note.GNU-stack","",@progbits
	.addrsig
	.addrsig_sym __hip_cuid_ca372eea10ad4fbe
	.amdgpu_metadata
---
amdhsa.kernels:
  - .args:
      - .actual_access:  read_only
        .address_space:  global
        .offset:         0
        .size:           8
        .value_kind:     global_buffer
      - .actual_access:  read_only
        .address_space:  global
        .offset:         8
        .size:           8
        .value_kind:     global_buffer
      - .actual_access:  read_only
        .address_space:  global
        .offset:         16
        .size:           8
        .value_kind:     global_buffer
      - .actual_access:  read_only
        .address_space:  global
        .offset:         24
        .size:           8
        .value_kind:     global_buffer
      - .actual_access:  read_only
        .address_space:  global
        .offset:         32
        .size:           8
        .value_kind:     global_buffer
      - .offset:         40
        .size:           8
        .value_kind:     by_value
      - .address_space:  global
        .offset:         48
        .size:           8
        .value_kind:     global_buffer
      - .address_space:  global
        .offset:         56
        .size:           8
        .value_kind:     global_buffer
      - .address_space:  global
        .offset:         64
        .size:           8
        .value_kind:     global_buffer
      - .address_space:  global
        .offset:         72
        .size:           8
        .value_kind:     global_buffer
      - .offset:         80
        .size:           4
        .value_kind:     by_value
      - .address_space:  global
        .offset:         88
        .size:           8
        .value_kind:     global_buffer
      - .address_space:  global
        .offset:         96
        .size:           8
        .value_kind:     global_buffer
    .group_segment_fixed_size: 6720
    .kernarg_segment_align: 8
    .kernarg_segment_size: 104
    .language:       OpenCL C
    .language_version:
      - 2
      - 0
    .max_flat_workgroup_size: 56
    .name:           bluestein_single_back_len840_dim1_sp_op_CI_CI
    .private_segment_fixed_size: 0
    .sgpr_count:     18
    .sgpr_spill_count: 0
    .symbol:         bluestein_single_back_len840_dim1_sp_op_CI_CI.kd
    .uniform_work_group_size: 1
    .uses_dynamic_stack: false
    .vgpr_count:     220
    .vgpr_spill_count: 0
    .wavefront_size: 32
    .workgroup_processor_mode: 1
amdhsa.target:   amdgcn-amd-amdhsa--gfx1030
amdhsa.version:
  - 1
  - 2
...

	.end_amdgpu_metadata
